;; amdgpu-corpus repo=ROCm/rocFFT kind=compiled arch=gfx906 opt=O3
	.text
	.amdgcn_target "amdgcn-amd-amdhsa--gfx906"
	.amdhsa_code_object_version 6
	.protected	fft_rtc_back_len112_factors_4_4_7_wgs_133_tpt_7_dim2_sp_ip_CI_sbcc_twdbase8_2step_dirReg ; -- Begin function fft_rtc_back_len112_factors_4_4_7_wgs_133_tpt_7_dim2_sp_ip_CI_sbcc_twdbase8_2step_dirReg
	.globl	fft_rtc_back_len112_factors_4_4_7_wgs_133_tpt_7_dim2_sp_ip_CI_sbcc_twdbase8_2step_dirReg
	.p2align	8
	.type	fft_rtc_back_len112_factors_4_4_7_wgs_133_tpt_7_dim2_sp_ip_CI_sbcc_twdbase8_2step_dirReg,@function
fft_rtc_back_len112_factors_4_4_7_wgs_133_tpt_7_dim2_sp_ip_CI_sbcc_twdbase8_2step_dirReg: ; @fft_rtc_back_len112_factors_4_4_7_wgs_133_tpt_7_dim2_sp_ip_CI_sbcc_twdbase8_2step_dirReg
; %bb.0:
	s_load_dwordx4 s[0:3], s[4:5], 0x10
	s_mov_b32 s7, 0
	s_mov_b64 s[20:21], -1
	s_waitcnt lgkmcnt(0)
	s_load_dwordx2 s[16:17], s[0:1], 0x8
	s_load_dwordx2 s[14:15], s[4:5], 0x50
	;; [unrolled: 1-line block ×3, first 2 shown]
	s_waitcnt lgkmcnt(0)
	s_add_u32 s0, s16, -1
	s_addc_u32 s1, s17, -1
	s_add_u32 s8, 0, 0x50d6f500
	s_addc_u32 s9, 0, 46
	s_add_i32 s9, s9, 0xd794330
	s_mul_hi_u32 s19, s8, 0xffffffed
	s_sub_i32 s19, s19, s8
	s_mul_i32 s22, s9, 0xffffffed
	s_mul_i32 s10, s8, 0xffffffed
	s_add_i32 s19, s19, s22
	s_mul_hi_u32 s11, s9, s10
	s_mul_i32 s18, s9, s10
	s_mul_i32 s23, s8, s19
	s_mul_hi_u32 s10, s8, s10
	s_mul_hi_u32 s22, s8, s19
	s_add_u32 s10, s10, s23
	s_addc_u32 s22, 0, s22
	s_add_u32 s10, s10, s18
	s_mul_hi_u32 s23, s9, s19
	s_addc_u32 s10, s22, s11
	s_addc_u32 s11, s23, 0
	s_mul_i32 s18, s9, s19
	s_add_u32 s10, s10, s18
	v_mov_b32_e32 v1, s10
	s_addc_u32 s11, 0, s11
	v_add_co_u32_e32 v1, vcc, s8, v1
	s_cmp_lg_u64 vcc, 0
	s_addc_u32 s8, s9, s11
	v_readfirstlane_b32 s11, v1
	s_mul_i32 s10, s0, s8
	s_mul_hi_u32 s18, s0, s11
	s_mul_hi_u32 s9, s0, s8
	s_add_u32 s10, s18, s10
	s_addc_u32 s9, 0, s9
	s_mul_hi_u32 s19, s1, s11
	s_mul_i32 s11, s1, s11
	s_add_u32 s10, s10, s11
	s_mul_hi_u32 s18, s1, s8
	s_addc_u32 s9, s9, s19
	s_addc_u32 s10, s18, 0
	s_mul_i32 s8, s1, s8
	s_add_u32 s8, s9, s8
	s_addc_u32 s9, 0, s10
	s_add_u32 s10, s8, 1
	s_addc_u32 s11, s9, 0
	s_add_u32 s18, s8, 2
	s_mul_i32 s22, s9, 19
	s_mul_hi_u32 s23, s8, 19
	s_addc_u32 s19, s9, 0
	s_add_i32 s23, s23, s22
	s_mul_i32 s22, s8, 19
	v_mov_b32_e32 v1, s22
	v_sub_co_u32_e32 v1, vcc, s0, v1
	s_cmp_lg_u64 vcc, 0
	s_subb_u32 s0, s1, s23
	v_subrev_co_u32_e32 v2, vcc, 19, v1
	s_cmp_lg_u64 vcc, 0
	s_subb_u32 s1, s0, 0
	v_readfirstlane_b32 s22, v2
	s_cmp_gt_u32 s22, 18
	s_cselect_b32 s22, -1, 0
	s_cmp_eq_u32 s1, 0
	s_cselect_b32 s1, s22, -1
	s_cmp_lg_u32 s1, 0
	s_cselect_b32 s1, s18, s10
	s_cselect_b32 s10, s19, s11
	v_readfirstlane_b32 s11, v1
	s_cmp_gt_u32 s11, 18
	s_cselect_b32 s11, -1, 0
	s_cmp_eq_u32 s0, 0
	s_cselect_b32 s0, s11, -1
	s_cmp_lg_u32 s0, 0
	s_cselect_b32 s0, s1, s8
	s_cselect_b32 s9, s10, s9
	s_add_u32 s0, s0, 1
	s_addc_u32 s1, s9, 0
	v_mov_b32_e32 v2, s1
	v_mov_b32_e32 v1, s0
	v_cmp_lt_u64_e32 vcc, s[6:7], v[1:2]
	s_mov_b64 s[22:23], 0
	s_cbranch_vccnz .LBB0_2
; %bb.1:
	v_cvt_f32_u32_e32 v1, s0
	s_sub_i32 s7, 0, s0
	v_rcp_iflag_f32_e32 v1, v1
	v_mul_f32_e32 v1, 0x4f7ffffe, v1
	v_cvt_u32_f32_e32 v1, v1
	v_readfirstlane_b32 s8, v1
	s_mul_i32 s7, s7, s8
	s_mul_hi_u32 s7, s8, s7
	s_add_i32 s8, s8, s7
	s_mul_hi_u32 s7, s6, s8
	s_mul_i32 s9, s7, s0
	s_sub_i32 s9, s6, s9
	s_add_i32 s8, s7, 1
	s_sub_i32 s10, s9, s0
	s_cmp_ge_u32 s9, s0
	s_cselect_b32 s7, s8, s7
	s_cselect_b32 s9, s10, s9
	s_add_i32 s8, s7, 1
	s_cmp_ge_u32 s9, s0
	s_cselect_b32 s22, s8, s7
.LBB0_2:
	s_mul_i32 s1, s22, s1
	s_mul_hi_u32 s7, s22, s0
	s_load_dwordx4 s[8:11], s[2:3], 0x8
	s_add_i32 s7, s7, s1
	s_mul_i32 s0, s22, s0
	s_sub_u32 s0, s6, s0
	s_subb_u32 s1, 0, s7
	s_mul_i32 s1, s1, 19
	s_mul_hi_u32 s2, s0, 19
	s_mul_i32 s0, s0, 19
	s_add_i32 s1, s2, s1
	s_waitcnt lgkmcnt(0)
	s_mul_i32 s3, s0, s9
	s_mul_hi_u32 s6, s0, s8
	v_mul_u32_u24_e32 v1, 0xd7a, v0
	s_mul_i32 s2, s1, s8
	s_add_i32 s3, s6, s3
	s_mul_i32 s6, s11, s22
	s_mul_hi_u32 s7, s10, s22
	v_lshrrev_b32_e32 v88, 16, v1
	s_add_i32 s3, s3, s2
	s_mul_i32 s2, s0, s8
	s_add_i32 s7, s7, s6
	s_mul_i32 s6, s10, s22
	v_mul_lo_u16_e32 v1, 19, v88
	s_add_u32 s6, s6, s2
	v_sub_u16_e32 v89, v0, v1
	s_addc_u32 s7, s7, s3
	v_mov_b32_e32 v1, s1
	v_add_co_u32_e32 v25, vcc, s0, v89
	s_load_dwordx2 s[18:19], s[4:5], 0x0
	v_addc_co_u32_e32 v26, vcc, 0, v1, vcc
	s_add_u32 s0, s0, 19
	v_mov_b32_e32 v1, s16
	s_addc_u32 s1, s1, 0
	v_mov_b32_e32 v2, s17
	v_cmp_gt_u64_e32 vcc, s[0:1], v[1:2]
	v_cmp_le_u64_e64 s[0:1], s[0:1], v[1:2]
	v_add_u32_e32 v36, 7, v88
	v_add_u32_e32 v37, 14, v88
	;; [unrolled: 1-line block ×3, first 2 shown]
	s_cbranch_vccnz .LBB0_4
; %bb.3:
	v_mad_u64_u32 v[1:2], s[2:3], s8, v89, 0
	v_mad_u64_u32 v[3:4], s[2:3], s12, v88, 0
	v_add_u32_e32 v8, 28, v88
	v_add_u32_e32 v27, 7, v88
	v_mad_u64_u32 v[5:6], s[2:3], s9, v89, v[2:3]
	v_mov_b32_e32 v2, v4
	v_mad_u64_u32 v[6:7], s[2:3], s13, v88, v[2:3]
	s_lshl_b64 s[2:3], s[6:7], 3
	s_add_u32 s10, s14, s2
	s_addc_u32 s2, s15, s3
	v_mov_b32_e32 v2, v5
	v_mov_b32_e32 v4, v6
	;; [unrolled: 1-line block ×3, first 2 shown]
	v_mad_u64_u32 v[5:6], s[2:3], s12, v8, 0
	v_lshlrev_b64 v[1:2], 3, v[1:2]
	v_add_u32_e32 v90, 14, v88
	v_add_co_u32_e32 v9, vcc, s10, v1
	v_addc_co_u32_e32 v10, vcc, v7, v2, vcc
	v_lshlrev_b64 v[1:2], 3, v[3:4]
	v_mov_b32_e32 v3, v6
	v_mad_u64_u32 v[3:4], s[2:3], s13, v8, v[3:4]
	v_add_u32_e32 v4, 56, v88
	v_mad_u64_u32 v[7:8], s[2:3], s12, v4, 0
	v_add_co_u32_e32 v34, vcc, v9, v1
	v_mov_b32_e32 v6, v3
	v_mov_b32_e32 v3, v8
	v_addc_co_u32_e32 v35, vcc, v10, v2, vcc
	v_lshlrev_b64 v[1:2], 3, v[5:6]
	v_mad_u64_u32 v[3:4], s[2:3], s13, v4, v[3:4]
	v_add_u32_e32 v6, 0x54, v88
	v_mad_u64_u32 v[4:5], s[2:3], s12, v6, 0
	v_mov_b32_e32 v8, v3
	v_add_co_u32_e32 v40, vcc, v9, v1
	v_mov_b32_e32 v3, v5
	v_mad_u64_u32 v[5:6], s[2:3], s13, v6, v[3:4]
	v_addc_co_u32_e32 v41, vcc, v10, v2, vcc
	v_lshlrev_b64 v[1:2], 3, v[7:8]
	v_mad_u64_u32 v[6:7], s[2:3], s12, v27, 0
	v_add_co_u32_e32 v42, vcc, v9, v1
	v_mov_b32_e32 v3, v7
	v_addc_co_u32_e32 v43, vcc, v10, v2, vcc
	v_lshlrev_b64 v[1:2], 3, v[4:5]
	v_mad_u64_u32 v[3:4], s[2:3], s13, v27, v[3:4]
	v_add_u32_e32 v8, 35, v88
	v_mad_u64_u32 v[4:5], s[2:3], s12, v8, 0
	v_add_co_u32_e32 v44, vcc, v9, v1
	v_mov_b32_e32 v7, v3
	v_mov_b32_e32 v3, v5
	v_addc_co_u32_e32 v45, vcc, v10, v2, vcc
	v_lshlrev_b64 v[1:2], 3, v[6:7]
	v_mad_u64_u32 v[5:6], s[2:3], s13, v8, v[3:4]
	v_add_u32_e32 v8, 63, v88
	v_mad_u64_u32 v[6:7], s[2:3], s12, v8, 0
	v_add_co_u32_e32 v46, vcc, v9, v1
	v_mov_b32_e32 v3, v7
	v_addc_co_u32_e32 v47, vcc, v10, v2, vcc
	v_lshlrev_b64 v[1:2], 3, v[4:5]
	v_mad_u64_u32 v[3:4], s[2:3], s13, v8, v[3:4]
	v_add_u32_e32 v8, 0x5b, v88
	v_mad_u64_u32 v[4:5], s[2:3], s12, v8, 0
	v_add_co_u32_e32 v48, vcc, v9, v1
	v_mov_b32_e32 v7, v3
	v_mov_b32_e32 v3, v5
	v_addc_co_u32_e32 v49, vcc, v10, v2, vcc
	v_lshlrev_b64 v[1:2], 3, v[6:7]
	v_mad_u64_u32 v[5:6], s[2:3], s13, v8, v[3:4]
	v_mad_u64_u32 v[6:7], s[2:3], s12, v90, 0
	v_add_co_u32_e32 v50, vcc, v9, v1
	v_mov_b32_e32 v3, v7
	v_addc_co_u32_e32 v51, vcc, v10, v2, vcc
	v_lshlrev_b64 v[1:2], 3, v[4:5]
	v_mad_u64_u32 v[3:4], s[2:3], s13, v90, v[3:4]
	v_add_u32_e32 v8, 42, v88
	v_mad_u64_u32 v[4:5], s[2:3], s12, v8, 0
	v_add_co_u32_e32 v52, vcc, v9, v1
	v_mov_b32_e32 v7, v3
	v_mov_b32_e32 v3, v5
	v_addc_co_u32_e32 v53, vcc, v10, v2, vcc
	v_lshlrev_b64 v[1:2], 3, v[6:7]
	v_mad_u64_u32 v[5:6], s[2:3], s13, v8, v[3:4]
	v_add_u32_e32 v8, 0x46, v88
	v_mad_u64_u32 v[6:7], s[2:3], s12, v8, 0
	v_add_co_u32_e32 v54, vcc, v9, v1
	v_mov_b32_e32 v3, v7
	v_addc_co_u32_e32 v55, vcc, v10, v2, vcc
	v_lshlrev_b64 v[1:2], 3, v[4:5]
	v_mad_u64_u32 v[3:4], s[2:3], s13, v8, v[3:4]
	v_add_u32_e32 v8, 0x62, v88
	v_mad_u64_u32 v[4:5], s[2:3], s12, v8, 0
	v_add_co_u32_e32 v56, vcc, v9, v1
	v_mov_b32_e32 v7, v3
	v_mov_b32_e32 v3, v5
	v_addc_co_u32_e32 v57, vcc, v10, v2, vcc
	v_lshlrev_b64 v[1:2], 3, v[6:7]
	v_mad_u64_u32 v[5:6], s[2:3], s13, v8, v[3:4]
	v_add_u32_e32 v39, 21, v88
	;; [unrolled: 15-line block ×3, first 2 shown]
	v_mad_u64_u32 v[6:7], s[2:3], s12, v8, 0
	v_add_co_u32_e32 v62, vcc, v9, v1
	v_mov_b32_e32 v3, v7
	v_addc_co_u32_e32 v63, vcc, v10, v2, vcc
	v_lshlrev_b64 v[1:2], 3, v[4:5]
	v_mad_u64_u32 v[3:4], s[2:3], s13, v8, v[3:4]
	v_add_u32_e32 v8, 0x69, v88
	v_mad_u64_u32 v[4:5], s[2:3], s12, v8, 0
	v_add_co_u32_e32 v64, vcc, v9, v1
	v_mov_b32_e32 v7, v3
	v_mov_b32_e32 v3, v5
	v_addc_co_u32_e32 v65, vcc, v10, v2, vcc
	v_lshlrev_b64 v[1:2], 3, v[6:7]
	v_mad_u64_u32 v[5:6], s[2:3], s13, v8, v[3:4]
	v_add_co_u32_e32 v66, vcc, v9, v1
	v_addc_co_u32_e32 v67, vcc, v10, v2, vcc
	v_lshlrev_b64 v[1:2], 3, v[4:5]
	v_add_co_u32_e32 v68, vcc, v9, v1
	v_addc_co_u32_e32 v69, vcc, v10, v2, vcc
	global_load_dwordx2 v[5:6], v[34:35], off
	global_load_dwordx2 v[3:4], v[40:41], off
	;; [unrolled: 1-line block ×15, first 2 shown]
                                        ; kill: killed $vgpr64 killed $vgpr65
                                        ; kill: killed $vgpr56 killed $vgpr57
                                        ; kill: killed $vgpr48 killed $vgpr49
                                        ; kill: killed $vgpr40 killed $vgpr41
                                        ; kill: killed $vgpr60 killed $vgpr61
                                        ; kill: killed $vgpr52 killed $vgpr53
                                        ; kill: killed $vgpr44 killed $vgpr45
                                        ; kill: killed $vgpr62 killed $vgpr63
                                        ; kill: killed $vgpr54 killed $vgpr55
                                        ; kill: killed $vgpr46 killed $vgpr47
                                        ; kill: killed $vgpr34 killed $vgpr35
                                        ; kill: killed $vgpr66 killed $vgpr67
                                        ; kill: killed $vgpr58 killed $vgpr59
                                        ; kill: killed $vgpr50 killed $vgpr51
                                        ; kill: killed $vgpr42 killed $vgpr43
	global_load_dwordx2 v[34:35], v[68:69], off
	s_cbranch_execz .LBB0_5
	s_branch .LBB0_10
.LBB0_4:
                                        ; implicit-def: $vgpr1
                                        ; implicit-def: $vgpr34
                                        ; implicit-def: $vgpr32
                                        ; implicit-def: $vgpr28
                                        ; implicit-def: $vgpr30
                                        ; implicit-def: $vgpr19
                                        ; implicit-def: $vgpr23
                                        ; implicit-def: $vgpr17
                                        ; implicit-def: $vgpr21
                                        ; implicit-def: $vgpr90
                                        ; implicit-def: $vgpr39
                                        ; implicit-def: $vgpr11
                                        ; implicit-def: $vgpr15
                                        ; implicit-def: $vgpr9
                                        ; implicit-def: $vgpr13
                                        ; implicit-def: $vgpr7
                                        ; implicit-def: $vgpr3
                                        ; implicit-def: $vgpr5
                                        ; implicit-def: $vgpr27
	s_andn2_b64 vcc, exec, s[20:21]
	s_cbranch_vccnz .LBB0_10
.LBB0_5:
	v_cmp_le_u64_e32 vcc, s[16:17], v[25:26]
                                        ; implicit-def: $vgpr27
                                        ; implicit-def: $vgpr90
                                        ; implicit-def: $vgpr39
	s_and_saveexec_b64 s[2:3], vcc
	s_xor_b64 s[2:3], exec, s[2:3]
; %bb.6:
	v_add_u32_e32 v27, 7, v88
	v_add_u32_e32 v90, 14, v88
	;; [unrolled: 1-line block ×3, first 2 shown]
                                        ; implicit-def: $vgpr36
                                        ; implicit-def: $vgpr37
                                        ; implicit-def: $vgpr38
; %bb.7:
	s_or_saveexec_b64 s[2:3], s[2:3]
                                        ; implicit-def: $vgpr1
                                        ; implicit-def: $vgpr34
                                        ; implicit-def: $vgpr32
                                        ; implicit-def: $vgpr28
                                        ; implicit-def: $vgpr30
                                        ; implicit-def: $vgpr19
                                        ; implicit-def: $vgpr23
                                        ; implicit-def: $vgpr17
                                        ; implicit-def: $vgpr21
                                        ; implicit-def: $vgpr11
                                        ; implicit-def: $vgpr15
                                        ; implicit-def: $vgpr9
                                        ; implicit-def: $vgpr13
                                        ; implicit-def: $vgpr7
                                        ; implicit-def: $vgpr3
                                        ; implicit-def: $vgpr5
	s_xor_b64 exec, exec, s[2:3]
	s_cbranch_execz .LBB0_9
; %bb.8:
	s_waitcnt vmcnt(12)
	v_mad_u64_u32 v[1:2], s[10:11], s8, v89, 0
	v_mad_u64_u32 v[3:4], s[10:11], s12, v88, 0
	v_add_u32_e32 v8, 28, v88
	s_waitcnt vmcnt(7)
	v_add_u32_e32 v22, 35, v88
	v_mad_u64_u32 v[5:6], s[10:11], s9, v89, v[2:3]
	v_mov_b32_e32 v2, v4
	v_mad_u64_u32 v[6:7], s[10:11], s13, v88, v[2:3]
	s_lshl_b64 s[10:11], s[6:7], 3
	s_add_u32 s20, s14, s10
	s_addc_u32 s10, s15, s11
	v_mov_b32_e32 v2, v5
	v_mov_b32_e32 v4, v6
	;; [unrolled: 1-line block ×3, first 2 shown]
	v_mad_u64_u32 v[5:6], s[10:11], s12, v8, 0
	v_lshlrev_b64 v[1:2], 3, v[1:2]
	v_mad_u64_u32 v[15:16], s[10:11], s12, v36, 0
	v_add_co_u32_e32 v45, vcc, s20, v1
	v_addc_co_u32_e32 v46, vcc, v7, v2, vcc
	v_lshlrev_b64 v[1:2], 3, v[3:4]
	v_mov_b32_e32 v3, v6
	v_mad_u64_u32 v[3:4], s[10:11], s13, v8, v[3:4]
	v_add_u32_e32 v4, 56, v88
	v_mad_u64_u32 v[7:8], s[10:11], s12, v4, 0
	v_add_co_u32_e32 v9, vcc, v45, v1
	v_mov_b32_e32 v6, v3
	v_mov_b32_e32 v3, v8
	v_addc_co_u32_e32 v10, vcc, v46, v2, vcc
	v_lshlrev_b64 v[1:2], 3, v[5:6]
	v_mad_u64_u32 v[3:4], s[10:11], s13, v4, v[3:4]
	v_add_u32_e32 v6, 0x54, v88
	v_mad_u64_u32 v[4:5], s[10:11], s12, v6, 0
	v_mov_b32_e32 v8, v3
	v_add_co_u32_e32 v11, vcc, v45, v1
	v_mov_b32_e32 v3, v5
	v_mad_u64_u32 v[5:6], s[10:11], s13, v6, v[3:4]
	v_addc_co_u32_e32 v12, vcc, v46, v2, vcc
	v_lshlrev_b64 v[1:2], 3, v[7:8]
	s_waitcnt vmcnt(5)
	v_mad_u64_u32 v[23:24], s[10:11], s12, v37, 0
	v_add_co_u32_e32 v13, vcc, v45, v1
	v_addc_co_u32_e32 v14, vcc, v46, v2, vcc
	v_lshlrev_b64 v[1:2], 3, v[4:5]
	s_waitcnt vmcnt(1)
	v_add_u32_e32 v32, 42, v88
	v_add_co_u32_e32 v17, vcc, v45, v1
	v_mov_b32_e32 v1, v16
	v_mad_u64_u32 v[19:20], s[10:11], s13, v36, v[1:2]
	v_mad_u64_u32 v[20:21], s[10:11], s12, v22, 0
	v_addc_co_u32_e32 v18, vcc, v46, v2, vcc
	global_load_dwordx2 v[5:6], v[9:10], off
	global_load_dwordx2 v[3:4], v[11:12], off
	;; [unrolled: 1-line block ×4, first 2 shown]
	v_mov_b32_e32 v11, v21
	v_mad_u64_u32 v[11:12], s[10:11], s13, v22, v[11:12]
	v_add_u32_e32 v14, 63, v88
	v_mad_u64_u32 v[12:13], s[10:11], s12, v14, 0
	v_mov_b32_e32 v16, v19
	v_mov_b32_e32 v21, v11
	;; [unrolled: 1-line block ×3, first 2 shown]
	v_lshlrev_b64 v[9:10], 3, v[15:16]
	v_mad_u64_u32 v[13:14], s[10:11], s13, v14, v[11:12]
	v_add_u32_e32 v16, 0x5b, v88
	v_mad_u64_u32 v[14:15], s[10:11], s12, v16, 0
	v_add_co_u32_e32 v17, vcc, v45, v9
	v_addc_co_u32_e32 v18, vcc, v46, v10, vcc
	v_lshlrev_b64 v[9:10], 3, v[20:21]
	v_mov_b32_e32 v11, v15
	v_add_co_u32_e32 v19, vcc, v45, v9
	v_addc_co_u32_e32 v20, vcc, v46, v10, vcc
	v_lshlrev_b64 v[9:10], 3, v[12:13]
	v_mad_u64_u32 v[11:12], s[10:11], s13, v16, v[11:12]
	v_add_co_u32_e32 v21, vcc, v45, v9
	v_mov_b32_e32 v15, v11
	v_addc_co_u32_e32 v22, vcc, v46, v10, vcc
	v_lshlrev_b64 v[9:10], 3, v[14:15]
	s_waitcnt vmcnt(4)
	v_mad_u64_u32 v[33:34], s[10:11], s12, v38, 0
	v_add_co_u32_e32 v27, vcc, v45, v9
	v_mov_b32_e32 v9, v24
	v_mad_u64_u32 v[29:30], s[10:11], s13, v37, v[9:10]
	v_mad_u64_u32 v[30:31], s[10:11], s12, v32, 0
	v_addc_co_u32_e32 v28, vcc, v46, v10, vcc
	global_load_dwordx2 v[13:14], v[17:18], off
	global_load_dwordx2 v[9:10], v[19:20], off
	global_load_dwordx2 v[15:16], v[21:22], off
	global_load_dwordx2 v[11:12], v[27:28], off
	v_mov_b32_e32 v19, v31
	v_mad_u64_u32 v[19:20], s[10:11], s13, v32, v[19:20]
	v_add_u32_e32 v22, 0x46, v88
	v_mad_u64_u32 v[20:21], s[10:11], s12, v22, 0
	v_mov_b32_e32 v24, v29
	v_mov_b32_e32 v31, v19
	v_mov_b32_e32 v19, v21
	v_lshlrev_b64 v[17:18], 3, v[23:24]
	v_mad_u64_u32 v[21:22], s[10:11], s13, v22, v[19:20]
	v_add_u32_e32 v24, 0x62, v88
	v_mad_u64_u32 v[22:23], s[10:11], s12, v24, 0
	v_add_co_u32_e32 v27, vcc, v45, v17
	v_addc_co_u32_e32 v28, vcc, v46, v18, vcc
	v_lshlrev_b64 v[17:18], 3, v[30:31]
	v_mov_b32_e32 v19, v23
	v_add_co_u32_e32 v29, vcc, v45, v17
	v_addc_co_u32_e32 v30, vcc, v46, v18, vcc
	v_lshlrev_b64 v[17:18], 3, v[20:21]
	v_mad_u64_u32 v[19:20], s[10:11], s13, v24, v[19:20]
	v_add_co_u32_e32 v31, vcc, v45, v17
	v_mov_b32_e32 v23, v19
	v_addc_co_u32_e32 v32, vcc, v46, v18, vcc
	v_lshlrev_b64 v[17:18], 3, v[22:23]
	v_mov_b32_e32 v90, v37
	v_add_co_u32_e32 v39, vcc, v45, v17
	v_mov_b32_e32 v17, v34
	v_mad_u64_u32 v[34:35], s[10:11], s13, v38, v[17:18]
	v_add_u32_e32 v35, 49, v88
	v_mad_u64_u32 v[41:42], s[10:11], s12, v35, 0
	v_addc_co_u32_e32 v40, vcc, v46, v18, vcc
	global_load_dwordx2 v[21:22], v[27:28], off
	global_load_dwordx2 v[17:18], v[29:30], off
	;; [unrolled: 1-line block ×4, first 2 shown]
	v_mov_b32_e32 v29, v42
	v_mad_u64_u32 v[29:30], s[10:11], s13, v35, v[29:30]
	v_add_u32_e32 v32, 0x4d, v88
	v_mad_u64_u32 v[30:31], s[10:11], s12, v32, 0
	v_mov_b32_e32 v42, v29
	v_lshlrev_b64 v[27:28], 3, v[33:34]
	v_mov_b32_e32 v29, v31
	v_mad_u64_u32 v[31:32], s[10:11], s13, v32, v[29:30]
	v_add_u32_e32 v34, 0x69, v88
	v_mad_u64_u32 v[32:33], s[10:11], s12, v34, 0
	v_add_co_u32_e32 v39, vcc, v45, v27
	v_addc_co_u32_e32 v40, vcc, v46, v28, vcc
	v_lshlrev_b64 v[27:28], 3, v[41:42]
	v_mov_b32_e32 v29, v33
	v_add_co_u32_e32 v41, vcc, v45, v27
	v_addc_co_u32_e32 v42, vcc, v46, v28, vcc
	v_lshlrev_b64 v[27:28], 3, v[30:31]
	v_mad_u64_u32 v[29:30], s[10:11], s13, v34, v[29:30]
	v_add_co_u32_e32 v43, vcc, v45, v27
	v_mov_b32_e32 v33, v29
	v_addc_co_u32_e32 v44, vcc, v46, v28, vcc
	v_lshlrev_b64 v[27:28], 3, v[32:33]
	v_add_co_u32_e32 v45, vcc, v45, v27
	v_addc_co_u32_e32 v46, vcc, v46, v28, vcc
	global_load_dwordx2 v[30:31], v[39:40], off
	global_load_dwordx2 v[28:29], v[41:42], off
	;; [unrolled: 1-line block ×4, first 2 shown]
	v_mov_b32_e32 v27, v36
	v_mov_b32_e32 v39, v38
.LBB0_9:
	s_or_b64 exec, exec, s[2:3]
.LBB0_10:
	s_waitcnt vmcnt(13)
	v_sub_f32_e32 v8, v6, v8
	s_waitcnt vmcnt(12)
	v_sub_f32_e32 v37, v4, v2
	v_fma_f32 v6, v6, 2.0, -v8
	v_fma_f32 v2, v4, 2.0, -v37
	v_sub_f32_e32 v7, v5, v7
	v_sub_f32_e32 v36, v3, v1
	;; [unrolled: 1-line block ×3, first 2 shown]
	v_fma_f32 v5, v5, 2.0, -v7
	v_fma_f32 v1, v3, 2.0, -v36
	;; [unrolled: 1-line block ×3, first 2 shown]
	v_sub_f32_e32 v6, v8, v36
	s_waitcnt vmcnt(9)
	v_sub_f32_e32 v15, v13, v15
	s_waitcnt vmcnt(8)
	v_sub_f32_e32 v36, v9, v11
	v_sub_f32_e32 v1, v5, v1
	v_fma_f32 v13, v13, 2.0, -v15
	v_fma_f32 v9, v9, 2.0, -v36
	;; [unrolled: 1-line block ×3, first 2 shown]
	v_add_f32_e32 v5, v7, v37
	v_sub_f32_e32 v16, v14, v16
	v_sub_f32_e32 v37, v10, v12
	;; [unrolled: 1-line block ×3, first 2 shown]
	v_fma_f32 v14, v14, 2.0, -v16
	v_fma_f32 v10, v10, 2.0, -v37
	;; [unrolled: 1-line block ×3, first 2 shown]
	v_add_f32_e32 v13, v15, v37
	s_waitcnt vmcnt(5)
	v_sub_f32_e32 v24, v22, v24
	s_waitcnt vmcnt(4)
	v_sub_f32_e32 v37, v18, v20
	v_sub_f32_e32 v10, v14, v10
	v_fma_f32 v22, v22, 2.0, -v24
	v_fma_f32 v18, v18, 2.0, -v37
	;; [unrolled: 1-line block ×3, first 2 shown]
	v_sub_f32_e32 v14, v16, v36
	v_sub_f32_e32 v23, v21, v23
	;; [unrolled: 1-line block ×4, first 2 shown]
	v_fma_f32 v21, v21, 2.0, -v23
	v_fma_f32 v17, v17, 2.0, -v36
	;; [unrolled: 1-line block ×3, first 2 shown]
	v_sub_f32_e32 v22, v24, v36
	s_waitcnt vmcnt(1)
	v_sub_f32_e32 v36, v30, v32
	s_waitcnt vmcnt(0)
	v_sub_f32_e32 v32, v29, v35
	v_sub_f32_e32 v17, v21, v17
	v_fma_f32 v29, v29, 2.0, -v32
	v_add_f32_e32 v32, v36, v32
	v_fma_f32 v19, v21, 2.0, -v17
	v_add_f32_e32 v21, v23, v37
	v_sub_f32_e32 v37, v31, v33
	v_fma_f32 v30, v30, 2.0, -v36
	v_sub_f32_e32 v33, v28, v34
	v_fma_f32 v34, v36, 2.0, -v32
	v_mul_u32_u24_e32 v36, 0x260, v88
	v_lshlrev_b32_e32 v42, 3, v89
	v_fma_f32 v7, v7, 2.0, -v5
	v_fma_f32 v8, v8, 2.0, -v6
	v_add3_u32 v36, 0, v36, v42
	ds_write2_b64 v36, v[3:4], v[7:8] offset1:19
	ds_write2_b64 v36, v[1:2], v[5:6] offset0:38 offset1:57
	v_mul_i32_i24_e32 v1, 0x260, v27
	v_fma_f32 v15, v15, 2.0, -v13
	v_fma_f32 v16, v16, 2.0, -v14
	v_add3_u32 v1, 0, v1, v42
	ds_write2_b64 v1, v[11:12], v[15:16] offset1:19
	ds_write2_b64 v1, v[9:10], v[13:14] offset0:38 offset1:57
	v_mul_i32_i24_e32 v1, 0x260, v90
	v_fma_f32 v23, v23, 2.0, -v21
	v_fma_f32 v24, v24, 2.0, -v22
	;; [unrolled: 1-line block ×4, first 2 shown]
	v_add3_u32 v1, 0, v1, v42
	v_sub_f32_e32 v28, v30, v28
	v_sub_f32_e32 v29, v31, v29
	;; [unrolled: 1-line block ×3, first 2 shown]
	ds_write2_b64 v1, v[19:20], v[23:24] offset1:19
	ds_write2_b64 v1, v[17:18], v[21:22] offset0:38 offset1:57
	v_mul_i32_i24_e32 v1, 0x260, v39
	v_fma_f32 v30, v30, 2.0, -v28
	v_fma_f32 v31, v31, 2.0, -v29
	;; [unrolled: 1-line block ×3, first 2 shown]
	v_add3_u32 v1, 0, v1, v42
	ds_write2_b64 v1, v[30:31], v[34:35] offset1:19
	ds_write2_b64 v1, v[28:29], v[32:33] offset0:38 offset1:57
	v_and_b32_e32 v1, 3, v88
	v_mul_u32_u24_e32 v1, 3, v1
	v_lshlrev_b32_e32 v17, 3, v1
	v_and_b32_e32 v43, 3, v27
	s_waitcnt lgkmcnt(0)
	s_barrier
	global_load_dwordx4 v[1:4], v17, s[18:19]
	v_mul_u32_u24_e32 v5, 3, v43
	v_lshlrev_b32_e32 v18, 3, v5
	global_load_dwordx4 v[5:8], v18, s[18:19]
	v_and_b32_e32 v44, 3, v90
	v_mul_u32_u24_e32 v9, 3, v44
	v_lshlrev_b32_e32 v19, 3, v9
	global_load_dwordx4 v[9:12], v19, s[18:19]
	v_and_b32_e32 v45, 3, v39
	v_mul_u32_u24_e32 v13, 3, v45
	v_lshlrev_b32_e32 v20, 3, v13
	global_load_dwordx4 v[13:16], v20, s[18:19]
	global_load_dwordx2 v[33:34], v17, s[18:19] offset:16
	global_load_dwordx2 v[35:36], v18, s[18:19] offset:16
	;; [unrolled: 1-line block ×4, first 2 shown]
	v_mul_u32_u24_e32 v17, 0x98, v88
	v_add3_u32 v32, 0, v17, v42
	v_add_u32_e32 v47, 0x1000, v32
	ds_read2_b64 v[17:20], v47 offset0:20 offset1:153
	v_add_u32_e32 v21, 0x2000, v32
	ds_read2_b64 v[21:24], v21 offset0:40 offset1:173
	;; [unrolled: 2-line block ×3, first 2 shown]
	v_add_u32_e32 v46, 0x2800, v32
	v_add_u32_e32 v52, 0x3800, v32
	s_movk_i32 s2, 0x7ff0
	s_waitcnt vmcnt(7) lgkmcnt(2)
	v_mul_f32_e32 v48, v2, v18
	v_mul_f32_e32 v2, v2, v17
	v_fmac_f32_e32 v48, v1, v17
	v_fma_f32 v17, v1, v18, -v2
	s_waitcnt lgkmcnt(1)
	v_mul_f32_e32 v18, v4, v22
	v_mul_f32_e32 v1, v4, v21
	v_fmac_f32_e32 v18, v3, v21
	v_fma_f32 v21, v3, v22, -v1
	s_waitcnt vmcnt(6)
	v_mul_f32_e32 v22, v20, v6
	v_mul_f32_e32 v1, v19, v6
	v_fmac_f32_e32 v22, v19, v5
	v_fma_f32 v19, v20, v5, -v1
	ds_read2_b64 v[1:4], v46 offset0:50 offset1:183
	v_mul_f32_e32 v20, v24, v8
	v_mul_f32_e32 v5, v23, v8
	v_fmac_f32_e32 v20, v23, v7
	v_fma_f32 v23, v24, v7, -v5
	s_waitcnt vmcnt(5) lgkmcnt(1)
	v_mul_f32_e32 v24, v29, v10
	v_mul_f32_e32 v5, v28, v10
	v_fmac_f32_e32 v24, v28, v9
	v_fma_f32 v28, v29, v9, -v5
	s_waitcnt lgkmcnt(0)
	v_mul_f32_e32 v29, v2, v12
	v_fmac_f32_e32 v29, v1, v11
	v_mul_f32_e32 v1, v1, v12
	v_fma_f32 v49, v2, v11, -v1
	s_waitcnt vmcnt(4)
	v_mul_f32_e32 v50, v31, v14
	v_mul_f32_e32 v1, v30, v14
	v_fmac_f32_e32 v50, v30, v13
	v_fma_f32 v30, v31, v13, -v1
	v_add_u32_e32 v1, 0x3000, v32
	ds_read2_b64 v[5:8], v1 offset0:60 offset1:193
	v_mul_f32_e32 v1, v3, v16
	v_mul_f32_e32 v31, v4, v16
	v_fma_f32 v51, v4, v15, -v1
	v_fmac_f32_e32 v31, v3, v15
	s_waitcnt vmcnt(3) lgkmcnt(0)
	v_mul_f32_e32 v1, v34, v5
	v_fma_f32 v10, v33, v6, -v1
	ds_read2_b64 v[1:4], v52 offset0:70 offset1:203
	v_mul_f32_e32 v9, v34, v6
	v_fmac_f32_e32 v9, v33, v5
	s_waitcnt vmcnt(2)
	v_mul_f32_e32 v15, v8, v36
	v_mul_f32_e32 v5, v7, v36
	s_waitcnt vmcnt(1) lgkmcnt(0)
	v_mul_f32_e32 v33, v2, v38
	v_fmac_f32_e32 v33, v1, v37
	v_mul_f32_e32 v1, v1, v38
	v_fma_f32 v34, v2, v37, -v1
	s_waitcnt vmcnt(0)
	v_mul_f32_e32 v1, v3, v41
	v_fma_f32 v36, v4, v40, -v1
	v_mul_i32_i24_e32 v1, 0x98, v90
	v_fmac_f32_e32 v15, v7, v35
	v_fma_f32 v16, v8, v35, -v5
	v_mul_f32_e32 v35, v4, v41
	v_add3_u32 v46, 0, v1, v42
	v_mul_i32_i24_e32 v1, 0x98, v39
	v_fmac_f32_e32 v35, v3, v40
	v_add3_u32 v5, 0, v1, v42
	ds_read_b64 v[1:2], v32
	ds_read_b64 v[3:4], v46
	v_mul_i32_i24_e32 v6, 0x98, v27
	v_add3_u32 v37, 0, v6, v42
	ds_read_b64 v[5:6], v5
	ds_read_b64 v[7:8], v37
	s_waitcnt lgkmcnt(3)
	v_sub_f32_e32 v13, v1, v18
	v_sub_f32_e32 v14, v2, v21
	v_sub_f32_e32 v18, v48, v9
	v_sub_f32_e32 v21, v17, v10
	v_fma_f32 v11, v1, 2.0, -v13
	v_fma_f32 v12, v2, 2.0, -v14
	;; [unrolled: 1-line block ×4, first 2 shown]
	v_lshl_or_b32 v17, v88, 2, v88
	v_sub_f32_e32 v1, v11, v1
	v_sub_f32_e32 v2, v12, v2
	v_and_b32_e32 v17, 51, v17
	v_fma_f32 v9, v11, 2.0, -v1
	v_fma_f32 v10, v12, 2.0, -v2
	v_add_f32_e32 v11, v13, v21
	v_sub_f32_e32 v12, v14, v18
	v_mul_u32_u24_e32 v17, 0x98, v17
	v_fma_f32 v13, v13, 2.0, -v11
	v_fma_f32 v14, v14, 2.0, -v12
	v_add3_u32 v17, 0, v17, v42
	s_waitcnt lgkmcnt(0)
	s_barrier
	ds_write2_b64 v17, v[9:10], v[13:14] offset1:76
	ds_write2_b64 v17, v[1:2], v[11:12] offset0:152 offset1:228
	v_sub_f32_e32 v11, v7, v20
	v_sub_f32_e32 v9, v19, v16
	;; [unrolled: 1-line block ×6, first 2 shown]
	v_fma_f32 v2, v19, 2.0, -v9
	v_sub_f32_e32 v19, v5, v31
	v_fma_f32 v23, v50, 2.0, -v21
	v_sub_f32_e32 v31, v20, v21
	v_lshlrev_b32_e32 v21, 2, v27
	v_fma_f32 v7, v7, 2.0, -v11
	v_fma_f32 v8, v8, 2.0, -v12
	;; [unrolled: 1-line block ×3, first 2 shown]
	v_and_or_b32 v21, v21, s2, v43
	v_sub_f32_e32 v1, v7, v1
	v_sub_f32_e32 v2, v8, v2
	v_add_f32_e32 v9, v11, v9
	v_sub_f32_e32 v10, v12, v10
	v_mul_u32_u24_e32 v21, 0x98, v21
	v_fma_f32 v7, v7, 2.0, -v1
	v_fma_f32 v8, v8, 2.0, -v2
	;; [unrolled: 1-line block ×4, first 2 shown]
	v_add3_u32 v21, 0, v21, v42
	v_sub_f32_e32 v17, v3, v29
	v_sub_f32_e32 v18, v4, v49
	;; [unrolled: 1-line block ×4, first 2 shown]
	ds_write2_b64 v21, v[7:8], v[11:12] offset1:76
	ds_write2_b64 v21, v[1:2], v[9:10] offset0:152 offset1:228
	v_lshlrev_b32_e32 v1, 2, v90
	v_fma_f32 v13, v3, 2.0, -v17
	v_fma_f32 v14, v4, 2.0, -v18
	;; [unrolled: 1-line block ×4, first 2 shown]
	v_and_or_b32 v1, v1, s2, v44
	v_sub_f32_e32 v3, v13, v3
	v_sub_f32_e32 v4, v14, v4
	v_add_f32_e32 v15, v17, v15
	v_sub_f32_e32 v16, v18, v16
	v_mul_u32_u24_e32 v1, 0x98, v1
	v_fma_f32 v13, v13, 2.0, -v3
	v_fma_f32 v14, v14, 2.0, -v4
	;; [unrolled: 1-line block ×4, first 2 shown]
	v_add3_u32 v1, 0, v1, v42
	v_sub_f32_e32 v22, v30, v36
	ds_write2_b64 v1, v[13:14], v[17:18] offset1:76
	ds_write2_b64 v1, v[3:4], v[15:16] offset0:152 offset1:228
	v_lshlrev_b32_e32 v1, 2, v39
	v_fma_f32 v5, v5, 2.0, -v19
	v_fma_f32 v6, v6, 2.0, -v20
	v_fma_f32 v24, v30, 2.0, -v22
	v_and_or_b32 v1, v1, s2, v45
	v_sub_f32_e32 v28, v5, v23
	v_sub_f32_e32 v29, v6, v24
	v_add_f32_e32 v30, v19, v22
	v_mul_u32_u24_e32 v1, 0x98, v1
	v_fma_f32 v5, v5, 2.0, -v28
	v_fma_f32 v6, v6, 2.0, -v29
	;; [unrolled: 1-line block ×4, first 2 shown]
	v_add3_u32 v1, 0, v1, v42
	ds_write2_b64 v1, v[5:6], v[19:20] offset1:76
	ds_write2_b64 v1, v[28:29], v[30:31] offset0:152 offset1:228
	v_add_u32_e32 v1, 0x800, v32
	v_add_u32_e32 v9, 0x1c00, v32
	v_add_u32_e32 v13, 0x2400, v32
	v_add_u32_e32 v17, 0x2c00, v32
	s_waitcnt lgkmcnt(0)
	s_barrier
	ds_read2_b64 v[1:4], v1 offset0:48 offset1:181
	ds_read2_b64 v[5:8], v47 offset0:96 offset1:229
	ds_read2_b64 v[9:12], v9 offset0:16 offset1:149
	ds_read2_b64 v[13:16], v13 offset0:64 offset1:197
	ds_read2_b64 v[17:20], v17 offset0:112 offset1:245
	ds_read_b64 v[44:45], v32
	ds_read_b64 v[42:43], v37
	ds_read2_b64 v[21:24], v52 offset0:32 offset1:165
	v_cmp_gt_u32_e64 s[2:3], 38, v0
                                        ; implicit-def: $vgpr39
                                        ; implicit-def: $vgpr35
                                        ; implicit-def: $vgpr33
                                        ; implicit-def: $vgpr37
                                        ; implicit-def: $vgpr41
	s_and_saveexec_b64 s[10:11], s[2:3]
	s_cbranch_execz .LBB0_12
; %bb.11:
	ds_read_b64 v[30:31], v32 offset:4560
	ds_read_b64 v[38:39], v32 offset:6992
	;; [unrolled: 1-line block ×5, first 2 shown]
	ds_read_b64 v[28:29], v46
	ds_read_b64 v[32:33], v32 offset:16720
.LBB0_12:
	s_or_b64 exec, exec, s[10:11]
	v_mul_u32_u24_e32 v0, 6, v88
	v_lshlrev_b32_e32 v0, 3, v0
	global_load_dwordx4 v[46:49], v0, s[18:19] offset:96
	global_load_dwordx4 v[50:53], v0, s[18:19] offset:112
	;; [unrolled: 1-line block ×3, first 2 shown]
	v_and_b32_e32 v0, 15, v27
	v_mul_u32_u24_e32 v58, 6, v0
	v_lshlrev_b32_e32 v70, 3, v58
	global_load_dwordx4 v[58:61], v70, s[18:19] offset:96
	global_load_dwordx4 v[62:65], v70, s[18:19] offset:112
	;; [unrolled: 1-line block ×3, first 2 shown]
	s_mov_b32 s10, 0xbf5ff5aa
	s_mov_b32 s11, 0x3f3bfb3b
	;; [unrolled: 1-line block ×4, first 2 shown]
	s_load_dwordx2 s[4:5], s[4:5], 0x8
	v_or_b32_e32 v91, 32, v88
	v_or_b32_e32 v92, 48, v88
	v_or_b32_e32 v93, 64, v88
	v_or_b32_e32 v95, 0x50, v88
	v_or_b32_e32 v94, 0x60, v88
	s_andn2_b64 vcc, exec, s[0:1]
	s_waitcnt vmcnt(5) lgkmcnt(0)
	v_mul_f32_e32 v70, v47, v2
	v_mul_f32_e32 v47, v47, v1
	;; [unrolled: 1-line block ×4, first 2 shown]
	s_waitcnt vmcnt(4)
	v_mul_f32_e32 v72, v51, v10
	v_mul_f32_e32 v51, v51, v9
	;; [unrolled: 1-line block ×4, first 2 shown]
	s_waitcnt vmcnt(3)
	v_mul_f32_e32 v74, v55, v18
	v_mul_f32_e32 v75, v57, v22
	;; [unrolled: 1-line block ×4, first 2 shown]
	v_fmac_f32_e32 v70, v46, v1
	v_fma_f32 v1, v46, v2, -v47
	v_fmac_f32_e32 v71, v48, v5
	v_fma_f32 v2, v48, v6, -v49
	v_fma_f32 v5, v50, v10, -v51
	v_fmac_f32_e32 v73, v52, v13
	v_fma_f32 v6, v52, v14, -v53
	v_fmac_f32_e32 v74, v54, v17
	v_fmac_f32_e32 v75, v56, v21
	v_fma_f32 v10, v56, v22, -v57
	s_waitcnt vmcnt(2)
	v_mul_f32_e32 v13, v59, v4
	v_mul_f32_e32 v14, v59, v3
	v_fmac_f32_e32 v72, v50, v9
	v_fma_f32 v9, v54, v18, -v55
	v_mul_f32_e32 v18, v61, v7
	s_waitcnt vmcnt(1)
	v_mul_f32_e32 v46, v16, v65
	s_waitcnt vmcnt(0)
	v_mul_f32_e32 v49, v19, v67
	v_fmac_f32_e32 v13, v58, v3
	v_fma_f32 v14, v58, v4, -v14
	v_add_f32_e32 v3, v70, v75
	v_add_f32_e32 v4, v1, v10
	v_sub_f32_e32 v1, v1, v10
	v_add_f32_e32 v10, v71, v74
	v_mul_f32_e32 v17, v61, v8
	v_mul_f32_e32 v21, v12, v63
	;; [unrolled: 1-line block ×6, first 2 shown]
	v_fma_f32 v8, v60, v8, -v18
	v_fmac_f32_e32 v46, v15, v64
	v_fma_f32 v15, v20, v66, -v49
	v_add_f32_e32 v18, v2, v9
	v_sub_f32_e32 v2, v2, v9
	v_add_f32_e32 v9, v72, v73
	v_add_f32_e32 v20, v5, v6
	v_sub_f32_e32 v5, v6, v5
	v_add_f32_e32 v6, v10, v3
	v_mul_f32_e32 v51, v23, v69
	v_fmac_f32_e32 v21, v11, v62
	v_fma_f32 v11, v12, v62, -v22
	v_fmac_f32_e32 v48, v19, v66
	v_fmac_f32_e32 v50, v23, v68
	v_sub_f32_e32 v19, v71, v74
	v_sub_f32_e32 v22, v73, v72
	v_add_f32_e32 v23, v18, v4
	v_add_f32_e32 v6, v9, v6
	v_fmac_f32_e32 v17, v60, v7
	v_fma_f32 v12, v16, v64, -v47
	v_fma_f32 v16, v24, v68, -v51
	v_sub_f32_e32 v7, v70, v75
	v_sub_f32_e32 v24, v10, v3
	;; [unrolled: 1-line block ×4, first 2 shown]
	v_add_f32_e32 v49, v22, v19
	v_sub_f32_e32 v53, v5, v2
	v_add_f32_e32 v9, v20, v23
	v_add_f32_e32 v23, v6, v44
	v_sub_f32_e32 v47, v18, v4
	v_sub_f32_e32 v4, v4, v20
	;; [unrolled: 1-line block ×3, first 2 shown]
	v_add_f32_e32 v51, v5, v2
	v_sub_f32_e32 v52, v22, v19
	v_sub_f32_e32 v22, v7, v22
	;; [unrolled: 1-line block ×4, first 2 shown]
	v_add_f32_e32 v7, v49, v7
	v_add_f32_e32 v64, v9, v45
	v_mul_f32_e32 v49, 0x3f08b237, v53
	v_mov_b32_e32 v53, v23
	v_sub_f32_e32 v5, v1, v5
	v_add_f32_e32 v1, v51, v1
	v_mul_f32_e32 v3, 0x3f4a47b2, v3
	v_mul_f32_e32 v4, 0x3f4a47b2, v4
	;; [unrolled: 1-line block ×7, first 2 shown]
	v_fmac_f32_e32 v53, 0xbf955555, v6
	v_mov_b32_e32 v6, v64
	v_fmac_f32_e32 v6, 0xbf955555, v9
	v_fma_f32 v9, v24, s11, -v20
	v_fma_f32 v20, v47, s11, -v44
	;; [unrolled: 1-line block ×3, first 2 shown]
	v_fmac_f32_e32 v3, 0x3d64c772, v10
	v_fma_f32 v10, v47, s20, -v4
	v_fmac_f32_e32 v4, 0x3d64c772, v18
	v_fma_f32 v18, v19, s10, -v45
	;; [unrolled: 2-line block ×3, first 2 shown]
	v_fma_f32 v19, v22, s21, -v51
	v_fma_f32 v22, v5, s21, -v52
	v_fmac_f32_e32 v49, 0xbeae86e6, v5
	v_add_f32_e32 v44, v4, v6
	v_add_f32_e32 v4, v9, v53
	;; [unrolled: 1-line block ×4, first 2 shown]
	v_fmac_f32_e32 v18, 0xbee1c552, v7
	v_fmac_f32_e32 v2, 0xbee1c552, v1
	;; [unrolled: 1-line block ×3, first 2 shown]
	v_add_f32_e32 v6, v10, v6
	v_fmac_f32_e32 v45, 0xbee1c552, v7
	v_fmac_f32_e32 v49, 0xbee1c552, v1
	;; [unrolled: 1-line block ×3, first 2 shown]
	v_add_f32_e32 v67, v22, v20
	v_sub_f32_e32 v69, v4, v2
	v_add_f32_e32 v70, v18, v9
	v_add_f32_e32 v5, v2, v4
	v_sub_f32_e32 v7, v9, v18
	v_sub_f32_e32 v4, v20, v22
	v_add_f32_e32 v1, v13, v50
	v_add_f32_e32 v9, v14, v16
	v_sub_f32_e32 v10, v13, v50
	v_sub_f32_e32 v20, v14, v16
	v_add_f32_e32 v16, v17, v48
	v_sub_f32_e32 v50, v17, v48
	v_add_f32_e32 v48, v11, v12
	v_sub_f32_e32 v11, v12, v11
	v_mul_lo_u32 v12, v25, v88
	v_add_f32_e32 v47, v21, v46
	v_sub_f32_e32 v51, v46, v21
	v_add_f32_e32 v46, v16, v1
	v_sub_f32_e32 v52, v16, v1
	v_sub_f32_e32 v54, v1, v47
	v_mov_b32_e32 v1, 3
	v_lshlrev_b32_sdwa v17, v1, v12 dst_sel:DWORD dst_unused:UNUSED_PAD src0_sel:DWORD src1_sel:BYTE_0
	v_add_f32_e32 v22, v8, v15
	v_sub_f32_e32 v8, v8, v15
	v_lshlrev_b32_sdwa v18, v1, v12 dst_sel:DWORD dst_unused:UNUSED_PAD src0_sel:DWORD src1_sel:BYTE_1
	global_load_dwordx2 v[12:13], v17, s[4:5]
	global_load_dwordx2 v[14:15], v18, s[4:5] offset:2048
	v_or_b32_e32 v24, 16, v88
	v_sub_f32_e32 v68, v6, v19
	v_add_f32_e32 v6, v19, v6
	v_mul_lo_u32 v19, v25, v24
	v_sub_f32_e32 v66, v44, v45
	v_add_f32_e32 v2, v45, v44
	v_sub_f32_e32 v55, v47, v16
	v_lshlrev_b32_sdwa v21, v1, v19 dst_sel:DWORD dst_unused:UNUSED_PAD src0_sel:DWORD src1_sel:BYTE_0
	v_lshlrev_b32_sdwa v44, v1, v19 dst_sel:DWORD dst_unused:UNUSED_PAD src0_sel:DWORD src1_sel:BYTE_1
	global_load_dwordx2 v[16:17], v21, s[4:5]
	global_load_dwordx2 v[18:19], v44, s[4:5] offset:2048
	v_mul_lo_u32 v21, v25, v91
	v_add_f32_e32 v3, v3, v53
	v_add_f32_e32 v65, v49, v3
	v_sub_f32_e32 v3, v3, v49
	v_lshlrev_b32_sdwa v59, v1, v21 dst_sel:DWORD dst_unused:UNUSED_PAD src0_sel:DWORD src1_sel:BYTE_0
	v_add_f32_e32 v49, v22, v9
	v_sub_f32_e32 v53, v22, v9
	v_sub_f32_e32 v56, v48, v22
	v_lshlrev_b32_sdwa v60, v1, v21 dst_sel:DWORD dst_unused:UNUSED_PAD src0_sel:DWORD src1_sel:BYTE_1
	global_load_dwordx2 v[21:22], v59, s[4:5]
	global_load_dwordx2 v[44:45], v60, s[4:5] offset:2048
	v_mul_lo_u32 v59, v25, v92
	v_add_f32_e32 v57, v51, v50
	v_add_f32_e32 v58, v11, v8
	;; [unrolled: 1-line block ×3, first 2 shown]
	v_sub_f32_e32 v9, v9, v48
	v_sub_f32_e32 v60, v51, v50
	v_add_f32_e32 v62, v48, v49
	v_lshlrev_b32_sdwa v63, v1, v59 dst_sel:DWORD dst_unused:UNUSED_PAD src0_sel:DWORD src1_sel:BYTE_0
	v_sub_f32_e32 v51, v10, v51
	v_sub_f32_e32 v50, v50, v10
	v_add_f32_e32 v10, v57, v10
	v_sub_f32_e32 v57, v11, v8
	v_sub_f32_e32 v11, v20, v11
	v_sub_f32_e32 v8, v8, v20
	v_add_f32_e32 v20, v58, v20
	v_add_f32_e32 v71, v61, v42
	v_mul_f32_e32 v42, 0x3f4a47b2, v54
	v_mul_f32_e32 v58, 0x3d64c772, v55
	v_lshlrev_b32_sdwa v59, v1, v59 dst_sel:DWORD dst_unused:UNUSED_PAD src0_sel:DWORD src1_sel:BYTE_1
	global_load_dwordx2 v[46:47], v63, s[4:5]
	global_load_dwordx2 v[48:49], v59, s[4:5] offset:2048
	v_add_f32_e32 v72, v62, v43
	v_mul_f32_e32 v9, 0x3f4a47b2, v9
	v_fma_f32 v58, v52, s11, -v58
	v_fma_f32 v52, v52, s20, -v42
	v_fmac_f32_e32 v42, 0x3d64c772, v55
	v_mul_f32_e32 v55, 0x3d64c772, v56
	v_mov_b32_e32 v43, v71
	v_mov_b32_e32 v54, v72
	v_mul_f32_e32 v73, 0x3f08b237, v60
	v_mul_f32_e32 v57, 0x3f08b237, v57
	v_fma_f32 v55, v53, s11, -v55
	v_fma_f32 v53, v53, s20, -v9
	v_fmac_f32_e32 v9, 0x3d64c772, v56
	v_mul_f32_e32 v56, 0xbf5ff5aa, v50
	v_fmac_f32_e32 v43, 0xbf955555, v61
	v_fmac_f32_e32 v54, 0xbf955555, v62
	v_fma_f32 v50, v50, s10, -v73
	v_fmac_f32_e32 v73, 0xbeae86e6, v51
	v_fma_f32 v51, v51, s21, -v56
	v_mul_f32_e32 v56, 0xbf5ff5aa, v8
	v_fma_f32 v8, v8, s10, -v57
	v_fmac_f32_e32 v57, 0xbeae86e6, v11
	v_add_f32_e32 v42, v42, v43
	v_add_f32_e32 v78, v9, v54
	;; [unrolled: 1-line block ×3, first 2 shown]
	v_fmac_f32_e32 v57, 0xbee1c552, v20
	v_fmac_f32_e32 v8, 0xbee1c552, v20
	v_fma_f32 v56, v11, s21, -v56
	v_add_f32_e32 v79, v57, v42
	v_sub_f32_e32 v96, v9, v8
	v_add_f32_e32 v11, v8, v9
	v_sub_f32_e32 v8, v42, v57
	v_add_f32_e32 v43, v52, v43
	v_fmac_f32_e32 v56, 0xbee1c552, v20
	v_add_f32_e32 v80, v56, v43
	v_sub_f32_e32 v9, v43, v56
	v_mul_lo_u32 v56, v25, v94
	v_add_f32_e32 v55, v55, v54
	v_add_f32_e32 v52, v53, v54
	s_waitcnt vmcnt(6)
	v_mul_f32_e32 v42, v13, v15
	v_fma_f32 v74, v12, v14, -v42
	v_mul_lo_u32 v42, v25, v93
	v_mul_f32_e32 v15, v12, v15
	v_fmac_f32_e32 v15, v13, v14
	v_mul_lo_u32 v14, v25, v95
	v_fmac_f32_e32 v50, 0xbee1c552, v10
	v_fmac_f32_e32 v51, 0xbee1c552, v10
	v_lshlrev_b32_sdwa v13, v1, v42 dst_sel:DWORD dst_unused:UNUSED_PAD src0_sel:DWORD src1_sel:BYTE_0
	v_fmac_f32_e32 v73, 0xbee1c552, v10
	v_sub_f32_e32 v81, v52, v51
	v_add_f32_e32 v97, v50, v55
	v_sub_f32_e32 v20, v55, v50
	v_add_f32_e32 v10, v51, v52
	v_lshlrev_b32_sdwa v52, v1, v42 dst_sel:DWORD dst_unused:UNUSED_PAD src0_sel:DWORD src1_sel:BYTE_1
	global_load_dwordx2 v[42:43], v13, s[4:5]
	global_load_dwordx2 v[50:51], v52, s[4:5] offset:2048
	v_lshlrev_b32_sdwa v13, v1, v14 dst_sel:DWORD dst_unused:UNUSED_PAD src0_sel:DWORD src1_sel:BYTE_0
	v_lshlrev_b32_sdwa v14, v1, v14 dst_sel:DWORD dst_unused:UNUSED_PAD src0_sel:DWORD src1_sel:BYTE_1
	global_load_dwordx2 v[52:53], v13, s[4:5]
	global_load_dwordx2 v[54:55], v14, s[4:5] offset:2048
	v_lshlrev_b32_sdwa v13, v1, v56 dst_sel:DWORD dst_unused:UNUSED_PAD src0_sel:DWORD src1_sel:BYTE_0
	v_lshlrev_b32_sdwa v14, v1, v56 dst_sel:DWORD dst_unused:UNUSED_PAD src0_sel:DWORD src1_sel:BYTE_1
	global_load_dwordx2 v[56:57], v13, s[4:5]
	global_load_dwordx2 v[58:59], v14, s[4:5] offset:2048
	v_mul_lo_u32 v60, v25, v0
	v_mul_f32_e32 v12, v64, v15
	v_mul_f32_e32 v13, v23, v15
	v_fmac_f32_e32 v12, v23, v74
	v_lshlrev_b32_sdwa v14, v1, v60 dst_sel:DWORD dst_unused:UNUSED_PAD src0_sel:DWORD src1_sel:BYTE_0
	v_lshlrev_b32_sdwa v15, v1, v60 dst_sel:DWORD dst_unused:UNUSED_PAD src0_sel:DWORD src1_sel:BYTE_1
	global_load_dwordx2 v[60:61], v14, s[4:5]
	global_load_dwordx2 v[62:63], v15, s[4:5] offset:2048
	s_waitcnt vmcnt(12)
	v_mul_f32_e32 v15, v16, v19
	v_mul_f32_e32 v14, v17, v19
	v_fmac_f32_e32 v15, v17, v18
	v_fma_f32 v14, v16, v18, -v14
	v_mul_f32_e32 v16, v66, v15
	v_mul_f32_e32 v15, v65, v15
	v_fma_f32 v17, v66, v14, -v15
	s_waitcnt vmcnt(10)
	v_mul_f32_e32 v15, v21, v45
	v_fmac_f32_e32 v16, v65, v14
	v_mul_f32_e32 v14, v22, v45
	v_fmac_f32_e32 v15, v22, v44
	v_or_b32_e32 v22, 16, v0
	v_fma_f32 v14, v21, v44, -v14
	v_mul_f32_e32 v18, v68, v15
	v_mul_f32_e32 v15, v67, v15
	v_mul_lo_u32 v22, v25, v22
	v_fma_f32 v19, v68, v14, -v15
	s_waitcnt vmcnt(8)
	v_mul_f32_e32 v15, v46, v49
	v_fmac_f32_e32 v18, v67, v14
	v_mul_f32_e32 v14, v47, v49
	v_fmac_f32_e32 v15, v47, v48
	v_fma_f32 v21, v46, v48, -v14
	v_mul_f32_e32 v14, v70, v15
	v_mul_f32_e32 v15, v69, v15
	v_fma_f32 v15, v70, v21, -v15
	v_fmac_f32_e32 v14, v69, v21
	v_lshlrev_b32_sdwa v23, v1, v22 dst_sel:DWORD dst_unused:UNUSED_PAD src0_sel:DWORD src1_sel:BYTE_0
	v_or_b32_e32 v21, 32, v0
	v_lshlrev_b32_sdwa v47, v1, v22 dst_sel:DWORD dst_unused:UNUSED_PAD src0_sel:DWORD src1_sel:BYTE_1
	v_mul_lo_u32 v46, v25, v21
	global_load_dwordx2 v[21:22], v23, s[4:5]
	global_load_dwordx2 v[44:45], v47, s[4:5] offset:2048
	v_or_b32_e32 v47, 48, v0
	v_fma_f32 v13, v64, v74, -v13
	v_mul_lo_u32 v64, v25, v47
	v_lshlrev_b32_sdwa v23, v1, v46 dst_sel:DWORD dst_unused:UNUSED_PAD src0_sel:DWORD src1_sel:BYTE_0
	v_lshlrev_b32_sdwa v65, v1, v46 dst_sel:DWORD dst_unused:UNUSED_PAD src0_sel:DWORD src1_sel:BYTE_1
	global_load_dwordx2 v[46:47], v23, s[4:5]
	global_load_dwordx2 v[48:49], v65, s[4:5] offset:2048
	v_lshlrev_b32_sdwa v23, v1, v64 dst_sel:DWORD dst_unused:UNUSED_PAD src0_sel:DWORD src1_sel:BYTE_0
	v_lshlrev_b32_sdwa v68, v1, v64 dst_sel:DWORD dst_unused:UNUSED_PAD src0_sel:DWORD src1_sel:BYTE_1
	global_load_dwordx2 v[64:65], v23, s[4:5]
	global_load_dwordx2 v[66:67], v68, s[4:5] offset:2048
	s_movk_i32 s10, 0x60
	s_waitcnt vmcnt(12)
	v_mul_f32_e32 v23, v43, v51
	v_fma_f32 v23, v42, v50, -v23
	v_mul_f32_e32 v68, v42, v51
	s_waitcnt vmcnt(10)
	v_mul_f32_e32 v42, v53, v55
	v_fma_f32 v69, v52, v54, -v42
	v_mul_f32_e32 v70, v52, v55
	s_waitcnt vmcnt(8)
	v_mul_f32_e32 v42, v57, v59
	v_fma_f32 v74, v56, v58, -v42
	v_or_b32_e32 v42, 64, v0
	v_mul_lo_u32 v42, v25, v42
	v_fmac_f32_e32 v70, v53, v54
	v_fmac_f32_e32 v68, v43, v50
	v_mul_f32_e32 v75, v56, v59
	v_lshlrev_b32_sdwa v53, v1, v42 dst_sel:DWORD dst_unused:UNUSED_PAD src0_sel:DWORD src1_sel:BYTE_0
	v_lshlrev_b32_sdwa v54, v1, v42 dst_sel:DWORD dst_unused:UNUSED_PAD src0_sel:DWORD src1_sel:BYTE_1
	global_load_dwordx2 v[42:43], v53, s[4:5]
	global_load_dwordx2 v[50:51], v54, s[4:5] offset:2048
	v_or_b32_e32 v53, 0x50, v0
	v_mul_lo_u32 v53, v25, v53
	v_or_b32_e32 v0, 0x60, v0
	v_mul_lo_u32 v0, v25, v0
	s_waitcnt vmcnt(8)
	v_mul_f32_e32 v52, v61, v63
	v_lshlrev_b32_sdwa v56, v1, v53 dst_sel:DWORD dst_unused:UNUSED_PAD src0_sel:DWORD src1_sel:BYTE_0
	v_fmac_f32_e32 v75, v57, v58
	v_fma_f32 v76, v60, v62, -v52
	v_lshlrev_b32_sdwa v57, v1, v53 dst_sel:DWORD dst_unused:UNUSED_PAD src0_sel:DWORD src1_sel:BYTE_1
	global_load_dwordx2 v[52:53], v56, s[4:5]
	global_load_dwordx2 v[54:55], v57, s[4:5] offset:2048
	v_mul_f32_e32 v56, v5, v68
	v_mul_f32_e32 v86, v7, v68
	v_fma_f32 v87, v7, v23, -v56
	v_lshlrev_b32_sdwa v7, v1, v0 dst_sel:DWORD dst_unused:UNUSED_PAD src0_sel:DWORD src1_sel:BYTE_0
	v_lshlrev_b32_sdwa v0, v1, v0 dst_sel:DWORD dst_unused:UNUSED_PAD src0_sel:DWORD src1_sel:BYTE_1
	global_load_dwordx2 v[56:57], v7, s[4:5]
	global_load_dwordx2 v[58:59], v0, s[4:5] offset:2048
	v_mul_f32_e32 v60, v60, v63
	v_mul_f32_e32 v0, v4, v70
	v_fmac_f32_e32 v60, v61, v62
	v_fma_f32 v85, v6, v69, -v0
	v_mul_f32_e32 v0, v3, v75
	v_mul_f32_e32 v82, v2, v75
	v_fma_f32 v83, v2, v74, -v0
	v_mul_f32_e32 v0, v71, v60
	v_fmac_f32_e32 v86, v5, v23
	v_mul_f32_e32 v84, v6, v70
	v_fmac_f32_e32 v82, v3, v74
	v_sub_f32_e32 v3, v78, v73
	s_waitcnt vmcnt(10)
	v_mul_f32_e32 v2, v21, v45
	v_mul_f32_e32 v74, v72, v60
	v_fma_f32 v75, v72, v76, -v0
	v_mul_f32_e32 v0, v22, v45
	v_fmac_f32_e32 v2, v22, v44
	v_fmac_f32_e32 v84, v4, v69
	s_waitcnt vmcnt(8)
	v_mul_f32_e32 v5, v46, v49
	v_fmac_f32_e32 v74, v71, v76
	v_fma_f32 v0, v21, v44, -v0
	v_mul_f32_e32 v4, v47, v49
	v_fmac_f32_e32 v5, v47, v48
	s_waitcnt vmcnt(6)
	v_mul_f32_e32 v7, v64, v67
	v_mul_f32_e32 v76, v3, v2
	;; [unrolled: 1-line block ×3, first 2 shown]
	v_fma_f32 v4, v46, v48, -v4
	v_mul_f32_e32 v6, v65, v67
	v_fmac_f32_e32 v7, v65, v66
	v_fma_f32 v77, v3, v0, -v2
	v_add_f32_e32 v2, v73, v78
	v_fmac_f32_e32 v76, v79, v0
	v_mul_f32_e32 v78, v81, v5
	v_mul_f32_e32 v0, v80, v5
	v_fma_f32 v6, v64, v66, -v6
	v_fmac_f32_e32 v78, v80, v4
	v_fma_f32 v79, v81, v4, -v0
	v_mul_f32_e32 v0, v96, v7
	v_fma_f32 v81, v97, v6, -v0
	v_and_b32_e32 v3, 15, v90
	v_mul_u32_u24_e32 v5, 6, v3
	v_mul_f32_e32 v80, v97, v7
	v_lshlrev_b32_e32 v66, 3, v5
	v_fmac_f32_e32 v80, v96, v6
	v_mul_lo_u32 v5, v25, v3
	v_or_b32_e32 v6, 16, v3
	v_mul_lo_u32 v6, v25, v6
	s_waitcnt vmcnt(4)
	v_mul_f32_e32 v4, v42, v51
	v_mul_f32_e32 v0, v43, v51
	v_fmac_f32_e32 v4, v43, v50
	v_fma_f32 v0, v42, v50, -v0
	v_mul_f32_e32 v70, v20, v4
	v_mul_f32_e32 v4, v11, v4
	v_fma_f32 v71, v20, v0, -v4
	v_fmac_f32_e32 v70, v11, v0
	s_waitcnt vmcnt(2)
	v_mul_f32_e32 v4, v52, v55
	v_mul_f32_e32 v0, v53, v55
	v_fmac_f32_e32 v4, v53, v54
	v_fma_f32 v0, v52, v54, -v0
	v_mul_f32_e32 v72, v10, v4
	v_mul_f32_e32 v4, v9, v4
	v_fma_f32 v73, v10, v0, -v4
	s_waitcnt vmcnt(0)
	v_mul_f32_e32 v4, v56, v59
	v_fmac_f32_e32 v72, v9, v0
	v_mul_f32_e32 v0, v57, v59
	v_fmac_f32_e32 v4, v57, v58
	v_fma_f32 v0, v56, v58, -v0
	v_mul_f32_e32 v68, v2, v4
	v_mul_f32_e32 v4, v8, v4
	v_fmac_f32_e32 v68, v8, v0
	v_fma_f32 v69, v2, v0, -v4
	v_lshlrev_b32_sdwa v0, v1, v5 dst_sel:DWORD dst_unused:UNUSED_PAD src0_sel:DWORD src1_sel:BYTE_0
	v_lshlrev_b32_sdwa v2, v1, v5 dst_sel:DWORD dst_unused:UNUSED_PAD src0_sel:DWORD src1_sel:BYTE_1
	v_lshlrev_b32_sdwa v4, v1, v6 dst_sel:DWORD dst_unused:UNUSED_PAD src0_sel:DWORD src1_sel:BYTE_0
	v_lshlrev_b32_sdwa v5, v1, v6 dst_sel:DWORD dst_unused:UNUSED_PAD src0_sel:DWORD src1_sel:BYTE_1
	global_load_dwordx2 v[46:47], v0, s[4:5]
	global_load_dwordx2 v[48:49], v2, s[4:5] offset:2048
	global_load_dwordx2 v[42:43], v4, s[4:5]
	global_load_dwordx2 v[44:45], v5, s[4:5] offset:2048
	v_or_b32_e32 v0, 48, v3
	v_mul_lo_u32 v0, v25, v0
	v_or_b32_e32 v6, 32, v3
	v_mul_lo_u32 v6, v25, v6
	v_or_b32_e32 v2, 64, v3
	v_lshlrev_b32_sdwa v97, v1, v0 dst_sel:DWORD dst_unused:UNUSED_PAD src0_sel:DWORD src1_sel:BYTE_0
	v_lshlrev_b32_sdwa v98, v1, v0 dst_sel:DWORD dst_unused:UNUSED_PAD src0_sel:DWORD src1_sel:BYTE_1
	v_or_b32_e32 v0, 0x50, v3
	v_or_b32_e32 v3, 0x60, v3
	v_mul_lo_u32 v2, v25, v2
	v_mul_lo_u32 v0, v25, v0
	;; [unrolled: 1-line block ×3, first 2 shown]
	v_lshlrev_b32_sdwa v67, v1, v6 dst_sel:DWORD dst_unused:UNUSED_PAD src0_sel:DWORD src1_sel:BYTE_0
	v_lshlrev_b32_sdwa v96, v1, v6 dst_sel:DWORD dst_unused:UNUSED_PAD src0_sel:DWORD src1_sel:BYTE_1
	v_lshlrev_b32_sdwa v99, v1, v2 dst_sel:DWORD dst_unused:UNUSED_PAD src0_sel:DWORD src1_sel:BYTE_0
	v_lshlrev_b32_sdwa v100, v1, v2 dst_sel:DWORD dst_unused:UNUSED_PAD src0_sel:DWORD src1_sel:BYTE_1
	;; [unrolled: 2-line block ×4, first 2 shown]
	global_load_dwordx2 v[62:63], v67, s[4:5]
	global_load_dwordx2 v[64:65], v96, s[4:5] offset:2048
	global_load_dwordx2 v[58:59], v97, s[4:5]
	global_load_dwordx2 v[60:61], v98, s[4:5] offset:2048
	;; [unrolled: 2-line block ×5, first 2 shown]
	global_load_dwordx4 v[0:3], v66, s[18:19] offset:128
	global_load_dwordx4 v[4:7], v66, s[18:19] offset:112
	global_load_dwordx4 v[8:11], v66, s[18:19] offset:96
	s_cbranch_vccnz .LBB0_14
; %bb.13:
	v_mad_u64_u32 v[66:67], s[0:1], s8, v89, 0
	v_mad_u64_u32 v[96:97], s[0:1], s12, v88, 0
	v_mad_u64_u32 v[98:99], s[0:1], s9, v89, v[67:68]
	v_mov_b32_e32 v67, v97
	v_mad_u64_u32 v[99:100], s[0:1], s13, v88, v[67:68]
	s_lshl_b64 s[0:1], s[6:7], 3
	s_add_u32 s4, s14, s0
	s_addc_u32 s0, s15, s1
	v_mov_b32_e32 v67, v98
	v_mov_b32_e32 v97, v99
	;; [unrolled: 1-line block ×3, first 2 shown]
	v_mad_u64_u32 v[98:99], s[0:1], s12, v24, 0
	v_lshlrev_b64 v[66:67], 3, v[66:67]
	v_lshlrev_b64 v[96:97], 3, v[96:97]
	v_add_co_u32_e32 v66, vcc, s4, v66
	v_addc_co_u32_e32 v67, vcc, v100, v67, vcc
	v_mad_u64_u32 v[99:100], s[0:1], s13, v24, v[99:100]
	v_add_co_u32_e32 v96, vcc, v66, v96
	v_addc_co_u32_e32 v97, vcc, v67, v97, vcc
	global_store_dwordx2 v[96:97], v[12:13], off
	v_lshlrev_b64 v[96:97], 3, v[98:99]
	v_mad_u64_u32 v[98:99], s[0:1], s12, v91, 0
	v_add_co_u32_e32 v96, vcc, v66, v96
	v_mad_u64_u32 v[99:100], s[0:1], s13, v91, v[99:100]
	v_mad_u64_u32 v[100:101], s[0:1], s12, v92, 0
	v_addc_co_u32_e32 v97, vcc, v67, v97, vcc
	global_store_dwordx2 v[96:97], v[16:17], off
	v_lshlrev_b64 v[96:97], 3, v[98:99]
	v_mov_b32_e32 v98, v101
	v_mad_u64_u32 v[98:99], s[0:1], s13, v92, v[98:99]
	v_add_co_u32_e32 v96, vcc, v66, v96
	v_mov_b32_e32 v101, v98
	v_mad_u64_u32 v[98:99], s[0:1], s12, v93, 0
	v_addc_co_u32_e32 v97, vcc, v67, v97, vcc
	global_store_dwordx2 v[96:97], v[18:19], off
	v_lshlrev_b64 v[96:97], 3, v[100:101]
	v_mad_u64_u32 v[99:100], s[0:1], s13, v93, v[99:100]
	v_mad_u64_u32 v[100:101], s[0:1], s12, v95, 0
	v_add_co_u32_e32 v96, vcc, v66, v96
	v_addc_co_u32_e32 v97, vcc, v67, v97, vcc
	global_store_dwordx2 v[96:97], v[14:15], off
	v_lshlrev_b64 v[96:97], 3, v[98:99]
	v_mov_b32_e32 v98, v101
	v_mad_u64_u32 v[98:99], s[0:1], s13, v95, v[98:99]
	v_add_co_u32_e32 v95, vcc, v66, v96
	v_addc_co_u32_e32 v96, vcc, v67, v97, vcc
	v_mov_b32_e32 v101, v98
	v_lshrrev_b32_e32 v99, 4, v27
	global_store_dwordx2 v[95:96], v[86:87], off
	v_lshlrev_b64 v[95:96], 3, v[100:101]
	v_mad_u64_u32 v[97:98], s[0:1], s12, v94, 0
	v_mad_u64_u32 v[99:100], s[0:1], v99, s10, v[27:28]
	v_add_co_u32_e32 v95, vcc, v66, v95
	v_mad_u64_u32 v[100:101], s[0:1], s13, v94, v[98:99]
	v_mad_u64_u32 v[101:102], s[0:1], s12, v99, 0
	v_addc_co_u32_e32 v96, vcc, v67, v96, vcc
	global_store_dwordx2 v[95:96], v[84:85], off
	v_mov_b32_e32 v98, v100
	v_mov_b32_e32 v96, v102
	v_lshlrev_b64 v[94:95], 3, v[97:98]
	v_mad_u64_u32 v[96:97], s[0:1], s13, v99, v[96:97]
	v_add_u32_e32 v98, 16, v99
	v_add_co_u32_e32 v94, vcc, v66, v94
	v_mov_b32_e32 v102, v96
	v_mad_u64_u32 v[96:97], s[0:1], s12, v98, 0
	v_addc_co_u32_e32 v95, vcc, v67, v95, vcc
	v_mad_u64_u32 v[97:98], s[0:1], s13, v98, v[97:98]
	v_add_u32_e32 v98, 32, v99
	global_store_dwordx2 v[94:95], v[82:83], off
	v_lshlrev_b64 v[94:95], 3, v[101:102]
	v_mad_u64_u32 v[100:101], s[0:1], s12, v98, 0
	v_add_co_u32_e32 v94, vcc, v66, v94
	v_addc_co_u32_e32 v95, vcc, v67, v95, vcc
	global_store_dwordx2 v[94:95], v[74:75], off
	v_lshlrev_b64 v[94:95], 3, v[96:97]
	v_mov_b32_e32 v96, v101
	v_mad_u64_u32 v[96:97], s[0:1], s13, v98, v[96:97]
	v_add_u32_e32 v98, 48, v99
	v_add_co_u32_e32 v94, vcc, v66, v94
	v_mov_b32_e32 v101, v96
	v_mad_u64_u32 v[96:97], s[0:1], s12, v98, 0
	v_addc_co_u32_e32 v95, vcc, v67, v95, vcc
	v_mad_u64_u32 v[97:98], s[0:1], s13, v98, v[97:98]
	v_add_u32_e32 v98, 64, v99
	global_store_dwordx2 v[94:95], v[76:77], off
	v_lshlrev_b64 v[94:95], 3, v[100:101]
	v_mad_u64_u32 v[100:101], s[0:1], s12, v98, 0
	v_add_co_u32_e32 v94, vcc, v66, v94
	v_addc_co_u32_e32 v95, vcc, v67, v95, vcc
	global_store_dwordx2 v[94:95], v[78:79], off
	v_lshlrev_b64 v[94:95], 3, v[96:97]
	v_mov_b32_e32 v96, v101
	v_mad_u64_u32 v[96:97], s[0:1], s13, v98, v[96:97]
	v_add_u32_e32 v98, 0x50, v99
	v_add_co_u32_e32 v94, vcc, v66, v94
	v_mov_b32_e32 v101, v96
	v_mad_u64_u32 v[96:97], s[0:1], s12, v98, 0
	v_addc_co_u32_e32 v95, vcc, v67, v95, vcc
	global_store_dwordx2 v[94:95], v[80:81], off
	v_lshlrev_b64 v[94:95], 3, v[100:101]
	v_mad_u64_u32 v[97:98], s[0:1], s13, v98, v[97:98]
	v_add_u32_e32 v100, 0x60, v99
	v_mad_u64_u32 v[98:99], s[0:1], s12, v100, 0
	v_add_co_u32_e32 v94, vcc, v66, v94
	v_addc_co_u32_e32 v95, vcc, v67, v95, vcc
	global_store_dwordx2 v[94:95], v[70:71], off
	v_lshlrev_b64 v[94:95], 3, v[96:97]
	v_mov_b32_e32 v96, v99
	v_mad_u64_u32 v[96:97], s[0:1], s13, v100, v[96:97]
	v_add_co_u32_e32 v94, vcc, v66, v94
	v_addc_co_u32_e32 v95, vcc, v67, v95, vcc
	v_mov_b32_e32 v99, v96
	global_store_dwordx2 v[94:95], v[72:73], off
	v_lshlrev_b64 v[94:95], 3, v[98:99]
	v_add_co_u32_e32 v94, vcc, v66, v94
	v_addc_co_u32_e32 v95, vcc, v67, v95, vcc
	s_and_b64 s[0:1], s[2:3], exec
	global_store_dwordx2 v[94:95], v[68:69], off
	s_cbranch_execz .LBB0_15
	s_branch .LBB0_18
.LBB0_14:
	s_mov_b64 s[0:1], 0
                                        ; implicit-def: $vgpr66_vgpr67
.LBB0_15:
	v_cmp_gt_u64_e32 vcc, s[16:17], v[25:26]
                                        ; implicit-def: $vgpr66_vgpr67
	s_and_saveexec_b64 s[4:5], vcc
	s_cbranch_execz .LBB0_17
; %bb.16:
	v_mad_u64_u32 v[25:26], s[10:11], s8, v89, 0
	v_mad_u64_u32 v[94:95], s[10:11], s12, v88, 0
	v_mad_u64_u32 v[66:67], s[8:9], s9, v89, v[26:27]
	v_mov_b32_e32 v26, v95
	v_mad_u64_u32 v[95:96], s[8:9], s13, v88, v[26:27]
	s_lshl_b64 s[6:7], s[6:7], 3
	s_add_u32 s8, s14, s6
	s_addc_u32 s6, s15, s7
	v_mov_b32_e32 v67, s6
	v_mad_u64_u32 v[96:97], s[6:7], s12, v24, 0
	v_mov_b32_e32 v26, v66
	v_lshlrev_b64 v[25:26], 3, v[25:26]
	v_mov_b32_e32 v89, v97
	v_add_co_u32_e32 v66, vcc, s8, v25
	v_addc_co_u32_e32 v67, vcc, v67, v26, vcc
	v_lshlrev_b64 v[25:26], 3, v[94:95]
	v_mad_u64_u32 v[94:95], s[6:7], s13, v24, v[89:90]
	v_add_co_u32_e32 v24, vcc, v66, v25
	v_addc_co_u32_e32 v25, vcc, v67, v26, vcc
	v_mov_b32_e32 v97, v94
	global_store_dwordx2 v[24:25], v[12:13], off
	v_lshlrev_b64 v[12:13], 3, v[96:97]
	v_mad_u64_u32 v[94:95], s[6:7], s12, v92, 0
	v_mad_u64_u32 v[24:25], s[6:7], s12, v91, 0
	v_add_co_u32_e32 v12, vcc, v66, v12
	v_addc_co_u32_e32 v13, vcc, v67, v13, vcc
	global_store_dwordx2 v[12:13], v[16:17], off
	v_mov_b32_e32 v16, v95
	v_mad_u64_u32 v[25:26], s[6:7], s13, v91, v[25:26]
	v_mad_u64_u32 v[16:17], s[6:7], s13, v92, v[16:17]
	v_lshlrev_b64 v[12:13], 3, v[24:25]
	v_or_b32_e32 v24, 0x50, v88
	v_mov_b32_e32 v95, v16
	v_mad_u64_u32 v[16:17], s[6:7], s12, v93, 0
	v_add_co_u32_e32 v12, vcc, v66, v12
	v_addc_co_u32_e32 v13, vcc, v67, v13, vcc
	global_store_dwordx2 v[12:13], v[18:19], off
	v_mad_u64_u32 v[17:18], s[6:7], s13, v93, v[17:18]
	v_lshlrev_b64 v[12:13], 3, v[94:95]
	v_mad_u64_u32 v[18:19], s[6:7], s12, v24, 0
	v_add_co_u32_e32 v12, vcc, v66, v12
	v_addc_co_u32_e32 v13, vcc, v67, v13, vcc
	global_store_dwordx2 v[12:13], v[14:15], off
	v_mov_b32_e32 v14, v19
	v_mad_u64_u32 v[14:15], s[6:7], s13, v24, v[14:15]
	v_lshlrev_b64 v[12:13], 3, v[16:17]
	v_lshrrev_b32_e32 v16, 4, v27
	v_add_co_u32_e32 v12, vcc, v66, v12
	v_addc_co_u32_e32 v13, vcc, v67, v13, vcc
	v_mov_b32_e32 v19, v14
	global_store_dwordx2 v[12:13], v[86:87], off
	v_lshlrev_b64 v[12:13], 3, v[18:19]
	v_or_b32_e32 v18, 0x60, v88
	v_mad_u64_u32 v[14:15], s[6:7], s12, v18, 0
	s_movk_i32 s6, 0x60
	v_mad_u64_u32 v[16:17], s[6:7], v16, s6, v[27:28]
	v_add_co_u32_e32 v12, vcc, v66, v12
	v_mad_u64_u32 v[17:18], s[6:7], s13, v18, v[15:16]
	v_mad_u64_u32 v[18:19], s[6:7], s12, v16, 0
	v_addc_co_u32_e32 v13, vcc, v67, v13, vcc
	v_mov_b32_e32 v15, v17
	global_store_dwordx2 v[12:13], v[84:85], off
	v_lshlrev_b64 v[12:13], 3, v[14:15]
	v_mov_b32_e32 v14, v19
	v_mad_u64_u32 v[14:15], s[6:7], s13, v16, v[14:15]
	v_add_u32_e32 v17, 16, v16
	v_add_co_u32_e32 v12, vcc, v66, v12
	v_mov_b32_e32 v19, v14
	v_mad_u64_u32 v[14:15], s[6:7], s12, v17, 0
	v_addc_co_u32_e32 v13, vcc, v67, v13, vcc
	global_store_dwordx2 v[12:13], v[82:83], off
	v_lshlrev_b64 v[12:13], 3, v[18:19]
	v_mad_u64_u32 v[17:18], s[6:7], s13, v17, v[15:16]
	v_add_u32_e32 v24, 32, v16
	v_mad_u64_u32 v[18:19], s[6:7], s12, v24, 0
	v_add_co_u32_e32 v12, vcc, v66, v12
	v_addc_co_u32_e32 v13, vcc, v67, v13, vcc
	v_mov_b32_e32 v15, v17
	global_store_dwordx2 v[12:13], v[74:75], off
	v_lshlrev_b64 v[12:13], 3, v[14:15]
	v_mov_b32_e32 v14, v19
	v_mad_u64_u32 v[14:15], s[6:7], s13, v24, v[14:15]
	v_add_u32_e32 v17, 48, v16
	v_add_co_u32_e32 v12, vcc, v66, v12
	v_mov_b32_e32 v19, v14
	v_mad_u64_u32 v[14:15], s[6:7], s12, v17, 0
	v_addc_co_u32_e32 v13, vcc, v67, v13, vcc
	global_store_dwordx2 v[12:13], v[76:77], off
	v_lshlrev_b64 v[12:13], 3, v[18:19]
	v_mad_u64_u32 v[17:18], s[6:7], s13, v17, v[15:16]
	v_add_u32_e32 v24, 64, v16
	v_mad_u64_u32 v[18:19], s[6:7], s12, v24, 0
	v_add_co_u32_e32 v12, vcc, v66, v12
	;; [unrolled: 17-line block ×3, first 2 shown]
	v_addc_co_u32_e32 v13, vcc, v67, v13, vcc
	v_mov_b32_e32 v15, v17
	global_store_dwordx2 v[12:13], v[70:71], off
	v_lshlrev_b64 v[12:13], 3, v[14:15]
	v_mov_b32_e32 v14, v19
	v_mad_u64_u32 v[14:15], s[6:7], s13, v16, v[14:15]
	v_add_co_u32_e32 v12, vcc, v66, v12
	v_addc_co_u32_e32 v13, vcc, v67, v13, vcc
	v_mov_b32_e32 v19, v14
	global_store_dwordx2 v[12:13], v[72:73], off
	v_lshlrev_b64 v[12:13], 3, v[18:19]
	s_andn2_b64 s[0:1], s[0:1], exec
	v_add_co_u32_e32 v12, vcc, v66, v12
	s_and_b64 s[2:3], s[2:3], exec
	v_addc_co_u32_e32 v13, vcc, v67, v13, vcc
	s_or_b64 s[0:1], s[0:1], s[2:3]
	global_store_dwordx2 v[12:13], v[68:69], off
.LBB0_17:
	s_or_b64 exec, exec, s[4:5]
.LBB0_18:
	s_and_saveexec_b64 s[2:3], s[0:1]
	s_cbranch_execnz .LBB0_20
; %bb.19:
	s_endpgm
.LBB0_20:
	s_waitcnt vmcnt(0)
	v_mul_f32_e32 v12, v31, v9
	v_mul_f32_e32 v9, v30, v9
	v_fmac_f32_e32 v12, v30, v8
	v_fma_f32 v8, v31, v8, -v9
	v_mul_f32_e32 v9, v39, v11
	v_mul_f32_e32 v11, v38, v11
	v_fmac_f32_e32 v9, v38, v10
	v_fma_f32 v10, v39, v10, -v11
	;; [unrolled: 4-line block ×6, first 2 shown]
	v_add_f32_e32 v3, v12, v1
	v_add_f32_e32 v13, v8, v2
	v_sub_f32_e32 v2, v8, v2
	v_add_f32_e32 v8, v9, v7
	v_sub_f32_e32 v1, v12, v1
	v_add_f32_e32 v12, v10, v0
	v_sub_f32_e32 v7, v9, v7
	v_sub_f32_e32 v0, v10, v0
	v_add_f32_e32 v9, v11, v5
	v_add_f32_e32 v10, v4, v6
	v_sub_f32_e32 v4, v6, v4
	v_add_f32_e32 v6, v8, v3
	v_sub_f32_e32 v5, v5, v11
	v_add_f32_e32 v11, v12, v13
	v_add_f32_e32 v6, v9, v6
	v_sub_f32_e32 v14, v8, v3
	v_sub_f32_e32 v15, v12, v13
	;; [unrolled: 1-line block ×8, first 2 shown]
	v_add_f32_e32 v9, v10, v11
	v_add_f32_e32 v10, v28, v6
	;; [unrolled: 1-line block ×4, first 2 shown]
	v_sub_f32_e32 v7, v7, v1
	v_sub_f32_e32 v0, v0, v2
	v_add_f32_e32 v11, v29, v9
	v_mul_f32_e32 v18, 0x3f08b237, v18
	v_mul_f32_e32 v19, 0x3f08b237, v19
	s_mov_b32 s0, 0xbf5ff5aa
	v_mov_b32_e32 v26, v10
	v_sub_f32_e32 v5, v1, v5
	v_sub_f32_e32 v4, v2, v4
	v_add_f32_e32 v1, v16, v1
	v_add_f32_e32 v2, v17, v2
	v_mul_f32_e32 v16, 0x3d64c772, v8
	v_mul_f32_e32 v17, 0x3d64c772, v12
	;; [unrolled: 1-line block ×4, first 2 shown]
	v_fmac_f32_e32 v26, 0xbf955555, v6
	v_mov_b32_e32 v6, v11
	s_mov_b32 s1, 0x3f3bfb3b
	v_fma_f32 v7, v7, s0, -v18
	v_fma_f32 v0, v0, s0, -v19
	s_mov_b32 s0, 0x3eae86e6
	v_mul_f32_e32 v3, 0x3f4a47b2, v3
	v_fmac_f32_e32 v6, 0xbf955555, v9
	v_fma_f32 v9, v14, s1, -v16
	v_fma_f32 v16, v15, s1, -v17
	s_mov_b32 s1, 0xbf3bfb3b
	v_fmac_f32_e32 v19, 0xbeae86e6, v4
	v_fma_f32 v4, v4, s0, -v25
	v_mul_f32_e32 v13, 0x3f4a47b2, v13
	v_fma_f32 v14, v14, s1, -v3
	v_add_f32_e32 v9, v9, v26
	v_fmac_f32_e32 v19, 0xbee1c552, v2
	v_fmac_f32_e32 v0, 0xbee1c552, v2
	;; [unrolled: 1-line block ×3, first 2 shown]
	v_mul_f32_e32 v2, v46, v49
	v_fmac_f32_e32 v3, 0x3d64c772, v8
	v_fma_f32 v8, v15, s1, -v13
	v_fmac_f32_e32 v13, 0x3d64c772, v12
	v_fmac_f32_e32 v18, 0xbeae86e6, v5
	v_fma_f32 v5, v5, s0, -v24
	v_add_f32_e32 v14, v14, v26
	v_sub_f32_e32 v24, v9, v0
	v_add_f32_e32 v9, v0, v9
	v_mul_f32_e32 v0, v47, v49
	v_fmac_f32_e32 v2, v47, v48
	v_add_f32_e32 v3, v3, v26
	v_add_f32_e32 v12, v13, v6
	;; [unrolled: 1-line block ×3, first 2 shown]
	v_fmac_f32_e32 v18, 0xbee1c552, v1
	v_fmac_f32_e32 v7, 0xbee1c552, v1
	;; [unrolled: 1-line block ×3, first 2 shown]
	v_add_f32_e32 v16, v4, v14
	v_sub_f32_e32 v14, v14, v4
	v_fma_f32 v1, v46, v48, -v0
	v_mul_f32_e32 v0, v11, v2
	v_mul_f32_e32 v2, v10, v2
	;; [unrolled: 1-line block ×3, first 2 shown]
	v_add_f32_e32 v6, v8, v6
	v_add_f32_e32 v8, v19, v3
	v_sub_f32_e32 v15, v12, v18
	v_fmac_f32_e32 v0, v10, v1
	v_fma_f32 v1, v11, v1, -v2
	v_mul_f32_e32 v2, v43, v45
	v_fmac_f32_e32 v4, v43, v44
	v_sub_f32_e32 v17, v6, v5
	v_add_f32_e32 v26, v5, v6
	v_sub_f32_e32 v19, v3, v19
	v_fma_f32 v3, v42, v44, -v2
	v_mul_f32_e32 v2, v15, v4
	v_mul_f32_e32 v4, v8, v4
	;; [unrolled: 1-line block ×3, first 2 shown]
	v_fmac_f32_e32 v2, v8, v3
	v_fma_f32 v3, v15, v3, -v4
	v_mul_f32_e32 v4, v63, v65
	v_fmac_f32_e32 v6, v63, v64
	v_fma_f32 v5, v62, v64, -v4
	v_mul_f32_e32 v4, v17, v6
	v_mul_f32_e32 v6, v16, v6
	;; [unrolled: 1-line block ×3, first 2 shown]
	v_add_f32_e32 v25, v7, v13
	v_fmac_f32_e32 v4, v16, v5
	v_fma_f32 v5, v17, v5, -v6
	v_mul_f32_e32 v6, v59, v61
	v_fmac_f32_e32 v8, v59, v60
	v_sub_f32_e32 v13, v13, v7
	v_fma_f32 v7, v58, v60, -v6
	v_mul_f32_e32 v6, v25, v8
	v_mul_f32_e32 v8, v24, v8
	;; [unrolled: 1-line block ×3, first 2 shown]
	v_fmac_f32_e32 v6, v24, v7
	v_fma_f32 v7, v25, v7, -v8
	v_mul_f32_e32 v8, v55, v57
	v_fmac_f32_e32 v11, v55, v56
	v_fma_f32 v10, v54, v56, -v8
	v_mul_f32_e32 v8, v13, v11
	v_add_f32_e32 v18, v18, v12
	v_fmac_f32_e32 v8, v9, v10
	v_mul_f32_e32 v9, v9, v11
	v_mul_f32_e32 v12, v50, v53
	v_fma_f32 v9, v13, v10, -v9
	v_mul_f32_e32 v10, v51, v53
	v_fmac_f32_e32 v12, v51, v52
	v_fma_f32 v11, v50, v52, -v10
	v_mul_f32_e32 v10, v26, v12
	v_mul_f32_e32 v12, v14, v12
	v_fmac_f32_e32 v10, v14, v11
	v_fma_f32 v11, v26, v11, -v12
	v_mul_f32_e32 v12, v21, v23
	v_fma_f32 v15, v20, v22, -v12
	v_mad_u64_u32 v[12:13], s[0:1], s12, v90, 0
	v_mul_f32_e32 v20, v20, v23
	v_fmac_f32_e32 v20, v21, v22
	v_mul_f32_e32 v14, v18, v20
	v_mad_u64_u32 v[16:17], s[0:1], s13, v90, v[13:14]
	v_mul_f32_e32 v13, v19, v20
	v_fmac_f32_e32 v14, v19, v15
	v_fma_f32 v15, v18, v15, -v13
	v_add_u32_e32 v18, 30, v88
	v_mov_b32_e32 v13, v16
	v_mad_u64_u32 v[16:17], s[0:1], s12, v18, 0
	v_add_u32_e32 v20, 46, v88
	v_lshlrev_b64 v[12:13], 3, v[12:13]
	v_mad_u64_u32 v[17:18], s[0:1], s13, v18, v[17:18]
	v_mad_u64_u32 v[18:19], s[0:1], s12, v20, 0
	v_add_co_u32_e32 v12, vcc, v66, v12
	v_addc_co_u32_e32 v13, vcc, v67, v13, vcc
	global_store_dwordx2 v[12:13], v[0:1], off
	v_mov_b32_e32 v12, v19
	v_mad_u64_u32 v[12:13], s[0:1], s13, v20, v[12:13]
	v_lshlrev_b64 v[0:1], 3, v[16:17]
	v_add_co_u32_e32 v0, vcc, v66, v0
	v_addc_co_u32_e32 v1, vcc, v67, v1, vcc
	v_mov_b32_e32 v19, v12
	v_add_u32_e32 v12, 62, v88
	global_store_dwordx2 v[0:1], v[2:3], off
	v_mad_u64_u32 v[2:3], s[0:1], s12, v12, 0
	v_lshlrev_b64 v[0:1], 3, v[18:19]
	v_mad_u64_u32 v[12:13], s[0:1], s13, v12, v[3:4]
	v_add_u32_e32 v13, 0x4e, v88
	v_mad_u64_u32 v[16:17], s[0:1], s12, v13, 0
	v_add_co_u32_e32 v0, vcc, v66, v0
	v_addc_co_u32_e32 v1, vcc, v67, v1, vcc
	v_mov_b32_e32 v3, v12
	global_store_dwordx2 v[0:1], v[4:5], off
	v_lshlrev_b64 v[0:1], 3, v[2:3]
	v_mov_b32_e32 v2, v17
	v_mad_u64_u32 v[2:3], s[0:1], s13, v13, v[2:3]
	v_add_u32_e32 v4, 0x5e, v88
	v_add_co_u32_e32 v0, vcc, v66, v0
	v_mov_b32_e32 v17, v2
	v_mad_u64_u32 v[2:3], s[0:1], s12, v4, 0
	v_addc_co_u32_e32 v1, vcc, v67, v1, vcc
	global_store_dwordx2 v[0:1], v[6:7], off
	v_mad_u64_u32 v[3:4], s[0:1], s13, v4, v[3:4]
	v_add_u32_e32 v6, 0x6e, v88
	v_lshlrev_b64 v[0:1], 3, v[16:17]
	v_mad_u64_u32 v[4:5], s[0:1], s12, v6, 0
	v_add_co_u32_e32 v0, vcc, v66, v0
	v_addc_co_u32_e32 v1, vcc, v67, v1, vcc
	global_store_dwordx2 v[0:1], v[8:9], off
	v_lshlrev_b64 v[0:1], 3, v[2:3]
	v_mov_b32_e32 v2, v5
	v_mad_u64_u32 v[2:3], s[0:1], s13, v6, v[2:3]
	v_add_co_u32_e32 v0, vcc, v66, v0
	v_addc_co_u32_e32 v1, vcc, v67, v1, vcc
	v_mov_b32_e32 v5, v2
	global_store_dwordx2 v[0:1], v[10:11], off
	v_lshlrev_b64 v[0:1], 3, v[4:5]
	v_add_co_u32_e32 v0, vcc, v66, v0
	v_addc_co_u32_e32 v1, vcc, v67, v1, vcc
	global_store_dwordx2 v[0:1], v[14:15], off
	s_endpgm
	.section	.rodata,"a",@progbits
	.p2align	6, 0x0
	.amdhsa_kernel fft_rtc_back_len112_factors_4_4_7_wgs_133_tpt_7_dim2_sp_ip_CI_sbcc_twdbase8_2step_dirReg
		.amdhsa_group_segment_fixed_size 0
		.amdhsa_private_segment_fixed_size 0
		.amdhsa_kernarg_size 88
		.amdhsa_user_sgpr_count 6
		.amdhsa_user_sgpr_private_segment_buffer 1
		.amdhsa_user_sgpr_dispatch_ptr 0
		.amdhsa_user_sgpr_queue_ptr 0
		.amdhsa_user_sgpr_kernarg_segment_ptr 1
		.amdhsa_user_sgpr_dispatch_id 0
		.amdhsa_user_sgpr_flat_scratch_init 0
		.amdhsa_user_sgpr_private_segment_size 0
		.amdhsa_uses_dynamic_stack 0
		.amdhsa_system_sgpr_private_segment_wavefront_offset 0
		.amdhsa_system_sgpr_workgroup_id_x 1
		.amdhsa_system_sgpr_workgroup_id_y 0
		.amdhsa_system_sgpr_workgroup_id_z 0
		.amdhsa_system_sgpr_workgroup_info 0
		.amdhsa_system_vgpr_workitem_id 0
		.amdhsa_next_free_vgpr 105
		.amdhsa_next_free_sgpr 24
		.amdhsa_reserve_vcc 1
		.amdhsa_reserve_flat_scratch 0
		.amdhsa_float_round_mode_32 0
		.amdhsa_float_round_mode_16_64 0
		.amdhsa_float_denorm_mode_32 3
		.amdhsa_float_denorm_mode_16_64 3
		.amdhsa_dx10_clamp 1
		.amdhsa_ieee_mode 1
		.amdhsa_fp16_overflow 0
		.amdhsa_exception_fp_ieee_invalid_op 0
		.amdhsa_exception_fp_denorm_src 0
		.amdhsa_exception_fp_ieee_div_zero 0
		.amdhsa_exception_fp_ieee_overflow 0
		.amdhsa_exception_fp_ieee_underflow 0
		.amdhsa_exception_fp_ieee_inexact 0
		.amdhsa_exception_int_div_zero 0
	.end_amdhsa_kernel
	.text
.Lfunc_end0:
	.size	fft_rtc_back_len112_factors_4_4_7_wgs_133_tpt_7_dim2_sp_ip_CI_sbcc_twdbase8_2step_dirReg, .Lfunc_end0-fft_rtc_back_len112_factors_4_4_7_wgs_133_tpt_7_dim2_sp_ip_CI_sbcc_twdbase8_2step_dirReg
                                        ; -- End function
	.section	.AMDGPU.csdata,"",@progbits
; Kernel info:
; codeLenInByte = 10000
; NumSgprs: 28
; NumVgprs: 105
; ScratchSize: 0
; MemoryBound: 0
; FloatMode: 240
; IeeeMode: 1
; LDSByteSize: 0 bytes/workgroup (compile time only)
; SGPRBlocks: 3
; VGPRBlocks: 26
; NumSGPRsForWavesPerEU: 28
; NumVGPRsForWavesPerEU: 105
; Occupancy: 2
; WaveLimiterHint : 1
; COMPUTE_PGM_RSRC2:SCRATCH_EN: 0
; COMPUTE_PGM_RSRC2:USER_SGPR: 6
; COMPUTE_PGM_RSRC2:TRAP_HANDLER: 0
; COMPUTE_PGM_RSRC2:TGID_X_EN: 1
; COMPUTE_PGM_RSRC2:TGID_Y_EN: 0
; COMPUTE_PGM_RSRC2:TGID_Z_EN: 0
; COMPUTE_PGM_RSRC2:TIDIG_COMP_CNT: 0
	.type	__hip_cuid_be11b04e26a83bdf,@object ; @__hip_cuid_be11b04e26a83bdf
	.section	.bss,"aw",@nobits
	.globl	__hip_cuid_be11b04e26a83bdf
__hip_cuid_be11b04e26a83bdf:
	.byte	0                               ; 0x0
	.size	__hip_cuid_be11b04e26a83bdf, 1

	.ident	"AMD clang version 19.0.0git (https://github.com/RadeonOpenCompute/llvm-project roc-6.4.0 25133 c7fe45cf4b819c5991fe208aaa96edf142730f1d)"
	.section	".note.GNU-stack","",@progbits
	.addrsig
	.addrsig_sym __hip_cuid_be11b04e26a83bdf
	.amdgpu_metadata
---
amdhsa.kernels:
  - .args:
      - .actual_access:  read_only
        .address_space:  global
        .offset:         0
        .size:           8
        .value_kind:     global_buffer
      - .address_space:  global
        .offset:         8
        .size:           8
        .value_kind:     global_buffer
      - .actual_access:  read_only
        .address_space:  global
        .offset:         16
        .size:           8
        .value_kind:     global_buffer
      - .actual_access:  read_only
        .address_space:  global
        .offset:         24
        .size:           8
        .value_kind:     global_buffer
      - .offset:         32
        .size:           8
        .value_kind:     by_value
      - .actual_access:  read_only
        .address_space:  global
        .offset:         40
        .size:           8
        .value_kind:     global_buffer
      - .actual_access:  read_only
        .address_space:  global
        .offset:         48
        .size:           8
        .value_kind:     global_buffer
      - .offset:         56
        .size:           4
        .value_kind:     by_value
      - .actual_access:  read_only
        .address_space:  global
        .offset:         64
        .size:           8
        .value_kind:     global_buffer
      - .actual_access:  read_only
        .address_space:  global
        .offset:         72
        .size:           8
        .value_kind:     global_buffer
      - .address_space:  global
        .offset:         80
        .size:           8
        .value_kind:     global_buffer
    .group_segment_fixed_size: 0
    .kernarg_segment_align: 8
    .kernarg_segment_size: 88
    .language:       OpenCL C
    .language_version:
      - 2
      - 0
    .max_flat_workgroup_size: 133
    .name:           fft_rtc_back_len112_factors_4_4_7_wgs_133_tpt_7_dim2_sp_ip_CI_sbcc_twdbase8_2step_dirReg
    .private_segment_fixed_size: 0
    .sgpr_count:     28
    .sgpr_spill_count: 0
    .symbol:         fft_rtc_back_len112_factors_4_4_7_wgs_133_tpt_7_dim2_sp_ip_CI_sbcc_twdbase8_2step_dirReg.kd
    .uniform_work_group_size: 1
    .uses_dynamic_stack: false
    .vgpr_count:     105
    .vgpr_spill_count: 0
    .wavefront_size: 64
amdhsa.target:   amdgcn-amd-amdhsa--gfx906
amdhsa.version:
  - 1
  - 2
...

	.end_amdgpu_metadata
